;; amdgpu-corpus repo=ROCm/Tensile kind=harvested arch=n/a opt=n/a

/******************************************/
/* Function Prefix                        */
/******************************************/



/******************************************/
/* Begin Kernel                           */
/******************************************/

// Component.Signature.SignatureDefault
.amdgcn_target "amdgcn-amd-amdhsa--gfx90a"
.text
.protected Cijk_Ailk_Bljk_I8II_BH_MT128x256x64_MI32x32x8x1_SE_1LDSB1_APM1_ABV0_ACED0_AF0EM1_AF1EM1_AMAS0_ASE_ASGT_ASLT_ASEM1_AAC0_BL1_BS1_CLR0_DTVA0_DVO0_ETSP_EPS1_EMLL0_FL0_GLVWA16_GLVWB16_GRPM1_GRVW16_GSU1_GSUASB_GLS0_ISA90a_IU1_K1_KLA_LBSPPA0_LBSPPB128_LPA8_LPB16_LDL1_LRVW16_LWPMn1_LDW0_FMA_MIAV0_MO40_MMFGLC_NTA0_NTB0_NTC0_NTD0_NEPBS4_NLCA1_NLCB1_ONLL1_OPLV0_PK0_PAP0_PGR1_PLR9_SIA3_SS0_SU32_SUM4_SUS256_SCIUI1_SPO0_SRVW4_SSO0_SVW4_SNLL0_TSGRA0_TSGRB0_TT1_256_TLDS1_UMLDSA0_UMLDSB1_USFGROn1_VAW1_VSn1_VW1_VWB1_VFLRP0_WSGRA1_WSGRB1_WG128_2_1_WGM1
.globl Cijk_Ailk_Bljk_I8II_BH_MT128x256x64_MI32x32x8x1_SE_1LDSB1_APM1_ABV0_ACED0_AF0EM1_AF1EM1_AMAS0_ASE_ASGT_ASLT_ASEM1_AAC0_BL1_BS1_CLR0_DTVA0_DVO0_ETSP_EPS1_EMLL0_FL0_GLVWA16_GLVWB16_GRPM1_GRVW16_GSU1_GSUASB_GLS0_ISA90a_IU1_K1_KLA_LBSPPA0_LBSPPB128_LPA8_LPB16_LDL1_LRVW16_LWPMn1_LDW0_FMA_MIAV0_MO40_MMFGLC_NTA0_NTB0_NTC0_NTD0_NEPBS4_NLCA1_NLCB1_ONLL1_OPLV0_PK0_PAP0_PGR1_PLR9_SIA3_SS0_SU32_SUM4_SUS256_SCIUI1_SPO0_SRVW4_SSO0_SVW4_SNLL0_TSGRA0_TSGRB0_TT1_256_TLDS1_UMLDSA0_UMLDSB1_USFGROn1_VAW1_VSn1_VW1_VWB1_VFLRP0_WSGRA1_WSGRB1_WG128_2_1_WGM1
.p2align 8
.type Cijk_Ailk_Bljk_I8II_BH_MT128x256x64_MI32x32x8x1_SE_1LDSB1_APM1_ABV0_ACED0_AF0EM1_AF1EM1_AMAS0_ASE_ASGT_ASLT_ASEM1_AAC0_BL1_BS1_CLR0_DTVA0_DVO0_ETSP_EPS1_EMLL0_FL0_GLVWA16_GLVWB16_GRPM1_GRVW16_GSU1_GSUASB_GLS0_ISA90a_IU1_K1_KLA_LBSPPA0_LBSPPB128_LPA8_LPB16_LDL1_LRVW16_LWPMn1_LDW0_FMA_MIAV0_MO40_MMFGLC_NTA0_NTB0_NTC0_NTD0_NEPBS4_NLCA1_NLCB1_ONLL1_OPLV0_PK0_PAP0_PGR1_PLR9_SIA3_SS0_SU32_SUM4_SUS256_SCIUI1_SPO0_SRVW4_SSO0_SVW4_SNLL0_TSGRA0_TSGRB0_TT1_256_TLDS1_UMLDSA0_UMLDSB1_USFGROn1_VAW1_VSn1_VW1_VWB1_VFLRP0_WSGRA1_WSGRB1_WG128_2_1_WGM1,@function
.section .rodata,#alloc
.p2align 6
.amdhsa_kernel Cijk_Ailk_Bljk_I8II_BH_MT128x256x64_MI32x32x8x1_SE_1LDSB1_APM1_ABV0_ACED0_AF0EM1_AF1EM1_AMAS0_ASE_ASGT_ASLT_ASEM1_AAC0_BL1_BS1_CLR0_DTVA0_DVO0_ETSP_EPS1_EMLL0_FL0_GLVWA16_GLVWB16_GRPM1_GRVW16_GSU1_GSUASB_GLS0_ISA90a_IU1_K1_KLA_LBSPPA0_LBSPPB128_LPA8_LPB16_LDL1_LRVW16_LWPMn1_LDW0_FMA_MIAV0_MO40_MMFGLC_NTA0_NTB0_NTC0_NTD0_NEPBS4_NLCA1_NLCB1_ONLL1_OPLV0_PK0_PAP0_PGR1_PLR9_SIA3_SS0_SU32_SUM4_SUS256_SCIUI1_SPO0_SRVW4_SSO0_SVW4_SNLL0_TSGRA0_TSGRB0_TT1_256_TLDS1_UMLDSA0_UMLDSB1_USFGROn1_VAW1_VSn1_VW1_VWB1_VFLRP0_WSGRA1_WSGRB1_WG128_2_1_WGM1
  .amdhsa_user_sgpr_kernarg_segment_ptr 1
  .amdhsa_user_sgpr_kernarg_preload_offset 0
  .amdhsa_user_sgpr_kernarg_preload_length 0
  .amdhsa_user_sgpr_count 2
  .amdhsa_accum_offset 128 // accvgpr offset
  .amdhsa_next_free_vgpr 256 // vgprs
  .amdhsa_next_free_sgpr 60 // sgprs
  .amdhsa_group_segment_fixed_size 27136 // lds bytes
  .amdhsa_private_segment_fixed_size 0
  .amdhsa_system_sgpr_workgroup_id_x 1
  .amdhsa_system_sgpr_workgroup_id_y 1
  .amdhsa_system_sgpr_workgroup_id_z 1
  .amdhsa_system_vgpr_workitem_id 0
  .amdhsa_float_denorm_mode_32 3
  .amdhsa_float_denorm_mode_16_64 3
.end_amdhsa_kernel
.text

/******************************************/
/* Optimizations and Config:              */
/******************************************/
/* ThreadTile= 16 x 8 */
/* SubGroup= 8 x 32 */
/* VectorWidthA=1 */
/* VectorWidthB=1 */
/* GlobalLoadVectorWidthA=16, GlobalLoadVectorWidthB=16 */
/* DirectToLdsA=False */
/* DirectToLdsB=False */
/* UseSgprForGRO=False */
.amdgpu_metadata
---
amdhsa.version:
  - 1
  - 1
amdhsa.target: amdgcn-amd-amdhsa--gfx90a
amdhsa.kernels:
  - .name: Cijk_Ailk_Bljk_I8II_BH_MT128x256x64_MI32x32x8x1_SE_1LDSB1_APM1_ABV0_ACED0_AF0EM1_AF1EM1_AMAS0_ASE_ASGT_ASLT_ASEM1_AAC0_BL1_BS1_CLR0_DTVA0_DVO0_ETSP_EPS1_EMLL0_FL0_GLVWA16_GLVWB16_GRPM1_GRVW16_GSU1_GSUASB_GLS0_ISA90a_IU1_K1_KLA_LBSPPA0_LBSPPB128_LPA8_LPB16_LDL1_LRVW16_LWPMn1_LDW0_FMA_MIAV0_MO40_MMFGLC_NTA0_NTB0_NTC0_NTD0_NEPBS4_NLCA1_NLCB1_ONLL1_OPLV0_PK0_PAP0_PGR1_PLR9_SIA3_SS0_SU32_SUM4_SUS256_SCIUI1_SPO0_SRVW4_SSO0_SVW4_SNLL0_TSGRA0_TSGRB0_TT1_256_TLDS1_UMLDSA0_UMLDSB1_USFGROn1_VAW1_VSn1_VW1_VWB1_VFLRP0_WSGRA1_WSGRB1_WG128_2_1_WGM1
    .symbol: 'Cijk_Ailk_Bljk_I8II_BH_MT128x256x64_MI32x32x8x1_SE_1LDSB1_APM1_ABV0_ACED0_AF0EM1_AF1EM1_AMAS0_ASE_ASGT_ASLT_ASEM1_AAC0_BL1_BS1_CLR0_DTVA0_DVO0_ETSP_EPS1_EMLL0_FL0_GLVWA16_GLVWB16_GRPM1_GRVW16_GSU1_GSUASB_GLS0_ISA90a_IU1_K1_KLA_LBSPPA0_LBSPPB128_LPA8_LPB16_LDL1_LRVW16_LWPMn1_LDW0_FMA_MIAV0_MO40_MMFGLC_NTA0_NTB0_NTC0_NTD0_NEPBS4_NLCA1_NLCB1_ONLL1_OPLV0_PK0_PAP0_PGR1_PLR9_SIA3_SS0_SU32_SUM4_SUS256_SCIUI1_SPO0_SRVW4_SSO0_SVW4_SNLL0_TSGRA0_TSGRB0_TT1_256_TLDS1_UMLDSA0_UMLDSB1_USFGROn1_VAW1_VSn1_VW1_VWB1_VFLRP0_WSGRA1_WSGRB1_WG128_2_1_WGM1.kd'
    .language:                   OpenCL C
    .language_version:
      - 2
      - 0
    .args:
      - .name:            Tensor2dSizeA
        .size:            8
        .offset:          0
        .value_kind:      by_value
        .value_type:      u64
      - .name:            Tensor2dSizeB
        .size:            8
        .offset:          8
        .value_kind:      by_value
        .value_type:      u64
      - .name:            AddressD
        .size:            8
        .offset:          16
        .value_kind:      by_value
        .value_type:      u64
      - .name:            AddressC
        .size:            8
        .offset:          24
        .value_kind:      by_value
        .value_type:      u64
      - .name:            AddressA
        .size:            8
        .offset:          32
        .value_kind:      by_value
        .value_type:      u64
      - .name:            AddressB
        .size:            8
        .offset:          40
        .value_kind:      by_value
        .value_type:      u64
      - .name:            Alpha
        .size:            4
        .offset:          48
        .value_kind:      by_value
        .value_type:      u32
      - .name:            Beta
        .size:            4
        .offset:          52
        .value_kind:      by_value
        .value_type:      u32
      - .name:            StridesD
        .size:            8
        .offset:          56
        .value_kind:      by_value
        .value_type:      u64
      - .name:            StridesC
        .size:            8
        .offset:          64
        .value_kind:      by_value
        .value_type:      u64
      - .name:            StridesA
        .size:            8
        .offset:          72
        .value_kind:      by_value
        .value_type:      u64
      - .name:            StridesB
        .size:            8
        .offset:          80
        .value_kind:      by_value
        .value_type:      u64
      - .name:            SizesFree
        .size:            12
        .offset:          88
        .value_kind:      by_value
        .value_type:      u96
      - .name:            SizesSum
        .size:            4
        .offset:          100
        .value_kind:      by_value
        .value_type:      u32
      - .name:            OrigStaggerUIter
        .size:            4
        .offset:          104
        .value_kind:      by_value
        .value_type:      u32
      - .name:            NumWorkGroups0
        .size:            4
        .offset:          108
        .value_kind:      by_value
        .value_type:      u32
      - .name:            NumWorkGroups1
        .size:            4
        .offset:          112
        .value_kind:      by_value
        .value_type:      u32
    .group_segment_fixed_size:   27136
    .kernarg_segment_align:      8
    .kernarg_segment_size:       120
    .max_flat_workgroup_size:    256
    .private_segment_fixed_size: 0
    .sgpr_count:                 60
    .sgpr_spill_count:           0
    .vgpr_count:                 128
    .vgpr_spill_count:           0
    .wavefront_size:             64
...
.end_amdgpu_metadata
Cijk_Ailk_Bljk_I8II_BH_MT128x256x64_MI32x32x8x1_SE_1LDSB1_APM1_ABV0_ACED0_AF0EM1_AF1EM1_AMAS0_ASE_ASGT_ASLT_ASEM1_AAC0_BL1_BS1_CLR0_DTVA0_DVO0_ETSP_EPS1_EMLL0_FL0_GLVWA16_GLVWB16_GRPM1_GRVW16_GSU1_GSUASB_GLS0_ISA90a_IU1_K1_KLA_LBSPPA0_LBSPPB128_LPA8_LPB16_LDL1_LRVW16_LWPMn1_LDW0_FMA_MIAV0_MO40_MMFGLC_NTA0_NTB0_NTC0_NTD0_NEPBS4_NLCA1_NLCB1_ONLL1_OPLV0_PK0_PAP0_PGR1_PLR9_SIA3_SS0_SU32_SUM4_SUS256_SCIUI1_SPO0_SRVW4_SSO0_SVW4_SNLL0_TSGRA0_TSGRB0_TT1_256_TLDS1_UMLDSA0_UMLDSB1_USFGROn1_VAW1_VSn1_VW1_VWB1_VFLRP0_WSGRA1_WSGRB1_WG128_2_1_WGM1:

/******************************************/
/* Asm syntax workarounds                 */
/******************************************/
.macro _v_add_co_u32 dst:req, cc:req, src0:req, src1:req, dpp=
   v_add_co_u32 \dst, \cc, \src0, \src1 \dpp
.endm

.macro _v_add_u32 dst:req, src0:req, src1:req, dpp=
   v_add_u32 \dst, \src0, \src1 \dpp
.endm

.macro _v_add_i32 dst:req, src0:req, src1:req, dpp=
   v_add_i32 \dst, \src0, \src1 \dpp
.endm

.macro _v_addc_co_u32 dst:req, ccOut:req, src0:req, ccIn:req, src1:req, dpp=
   v_addc_co_u32 \dst, \ccOut, \src0, \ccIn, \src1 \dpp
.endm

.macro _v_sub_co_u32 dst:req, cc:req, src0:req, src1:req, dpp=
   v_sub_co_u32 \dst, \cc, \src0, \src1 \dpp
.endm

.macro _v_sub_u32 dst:req, src0:req, src1:req, dpp=
   v_sub_u32 \dst, \src0, \src1 \dpp
.endm

.macro _v_sub_i32 dst:req, src0:req, src1:req, dpp=
   v_sub_i32 \dst, \src0, \src1 \dpp
.endm

.macro _v_add_lshl_u32 dst:req, src0:req, src1:req, shiftCnt:req
    v_add_lshl_u32 \dst, \src0, \src1, \shiftCnt
.endm

.macro _v_lshl_add_u32 dst:req, src0:req, src1:req, shiftCnt:req
    v_lshl_add_u32 \dst, \src0, \src1, \shiftCnt
.endm

.macro _v_lshl_or_b32 dst:req, src0:req, shiftCnt:req, src1:req
    v_lshl_or_b32 \dst, \src0, \shiftCnt, \src1
.endm

.macro _v_dot2acc_f32_f16 dst, src0, src1
v_dot2c_f32_f16 \dst, \src0, \src1
.endm

.macro _v_cmpx_lt_i16 dst, src0, src1=
   v_cmpx_lt_i16 \dst, \src0, \src1 
.endm

.macro _v_cmpx_lt_i32 dst, src0, src1=
   v_cmpx_lt_i32 \dst, \src0, \src1 
.endm

.macro _v_cmpx_lt_i64 dst, src0, src1=
   v_cmpx_lt_i64 \dst, \src0, \src1 
.endm

.macro _v_cmpx_lt_u16 dst, src0, src1=
   v_cmpx_lt_u16 \dst, \src0, \src1 
.endm

.macro _v_cmpx_lt_u32 dst, src0, src1=
   v_cmpx_lt_u32 \dst, \src0, \src1 
.endm

.macro _v_cmpx_lt_u64 dst, src0, src1=
   v_cmpx_lt_u64 \dst, \src0, \src1 
.endm

.macro _v_cmpx_eq_i16 dst, src0, src1=
   v_cmpx_eq_i16 \dst, \src0, \src1 
.endm

.macro _v_cmpx_eq_i32 dst, src0, src1=
   v_cmpx_eq_i32 \dst, \src0, \src1 
.endm

.macro _v_cmpx_eq_i64 dst, src0, src1=
   v_cmpx_eq_i64 \dst, \src0, \src1 
.endm

.macro _v_cmpx_eq_u16 dst, src0, src1=
   v_cmpx_eq_u16 \dst, \src0, \src1 
.endm

.macro _v_cmpx_eq_u32 dst, src0, src1=
   v_cmpx_eq_u32 \dst, \src0, \src1 
.endm

.macro _v_cmpx_eq_u64 dst, src0, src1=
   v_cmpx_eq_u64 \dst, \src0, \src1 
.endm

.macro _v_cmpx_le_i16 dst, src0, src1=
   v_cmpx_le_i16 \dst, \src0, \src1 
.endm

.macro _v_cmpx_le_i32 dst, src0, src1=
   v_cmpx_le_i32 \dst, \src0, \src1 
.endm

.macro _v_cmpx_le_i64 dst, src0, src1=
   v_cmpx_le_i64 \dst, \src0, \src1 
.endm

.macro _v_cmpx_le_u16 dst, src0, src1=
   v_cmpx_le_u16 \dst, \src0, \src1 
.endm

.macro _v_cmpx_le_u32 dst, src0, src1=
   v_cmpx_le_u32 \dst, \src0, \src1 
.endm

.macro _v_cmpx_le_u64 dst, src0, src1=
   v_cmpx_le_u64 \dst, \src0, \src1 
.endm

.macro _v_cmpx_gt_i16 dst, src0, src1=
   v_cmpx_gt_i16 \dst, \src0, \src1 
.endm

.macro _v_cmpx_gt_i32 dst, src0, src1=
   v_cmpx_gt_i32 \dst, \src0, \src1 
.endm

.macro _v_cmpx_gt_i64 dst, src0, src1=
   v_cmpx_gt_i64 \dst, \src0, \src1 
.endm

.macro _v_cmpx_gt_u16 dst, src0, src1=
   v_cmpx_gt_u16 \dst, \src0, \src1 
.endm

.macro _v_cmpx_gt_u32 dst, src0, src1=
   v_cmpx_gt_u32 \dst, \src0, \src1 
.endm

.macro _v_cmpx_gt_u64 dst, src0, src1=
   v_cmpx_gt_u64 \dst, \src0, \src1 
.endm

.macro _v_cmpx_ne_i16 dst, src0, src1=
   v_cmpx_ne_i16 \dst, \src0, \src1 
.endm

.macro _v_cmpx_ne_i32 dst, src0, src1=
   v_cmpx_ne_i32 \dst, \src0, \src1 
.endm

.macro _v_cmpx_ne_i64 dst, src0, src1=
   v_cmpx_ne_i64 \dst, \src0, \src1 
.endm

.macro _v_cmpx_ne_u16 dst, src0, src1=
   v_cmpx_ne_u16 \dst, \src0, \src1 
.endm

.macro _v_cmpx_ne_u32 dst, src0, src1=
   v_cmpx_ne_u32 \dst, \src0, \src1 
.endm

.macro _v_cmpx_ne_u64 dst, src0, src1=
   v_cmpx_ne_u64 \dst, \src0, \src1 
.endm

.macro _v_cmpx_lg_i16 dst, src0, src1=
   v_cmpx_lg_i16 \dst, \src0, \src1 
.endm

.macro _v_cmpx_lg_i32 dst, src0, src1=
   v_cmpx_lg_i32 \dst, \src0, \src1 
.endm

.macro _v_cmpx_lg_i64 dst, src0, src1=
   v_cmpx_lg_i64 \dst, \src0, \src1 
.endm

.macro _v_cmpx_lg_u16 dst, src0, src1=
   v_cmpx_lg_u16 \dst, \src0, \src1 
.endm

.macro _v_cmpx_lg_u32 dst, src0, src1=
   v_cmpx_lg_u32 \dst, \src0, \src1 
.endm

.macro _v_cmpx_lg_u64 dst, src0, src1=
   v_cmpx_lg_u64 \dst, \src0, \src1 
.endm

.macro _v_cmpx_ge_i16 dst, src0, src1=
   v_cmpx_ge_i16 \dst, \src0, \src1 
.endm

.macro _v_cmpx_ge_i32 dst, src0, src1=
   v_cmpx_ge_i32 \dst, \src0, \src1 
.endm

.macro _v_cmpx_ge_i64 dst, src0, src1=
   v_cmpx_ge_i64 \dst, \src0, \src1 
.endm

.macro _v_cmpx_ge_u16 dst, src0, src1=
   v_cmpx_ge_u16 \dst, \src0, \src1 
.endm

.macro _v_cmpx_ge_u32 dst, src0, src1=
   v_cmpx_ge_u32 \dst, \src0, \src1 
.endm

.macro _v_cmpx_ge_u64 dst, src0, src1=
   v_cmpx_ge_u64 \dst, \src0, \src1 
.endm

.macro _v_cmpx_o_i16 dst, src0, src1=
   v_cmpx_o_i16 \dst, \src0, \src1 
.endm

.macro _v_cmpx_o_i32 dst, src0, src1=
   v_cmpx_o_i32 \dst, \src0, \src1 
.endm

.macro _v_cmpx_o_i64 dst, src0, src1=
   v_cmpx_o_i64 \dst, \src0, \src1 
.endm

.macro _v_cmpx_o_u16 dst, src0, src1=
   v_cmpx_o_u16 \dst, \src0, \src1 
.endm

.macro _v_cmpx_o_u32 dst, src0, src1=
   v_cmpx_o_u32 \dst, \src0, \src1 
.endm

.macro _v_cmpx_o_u64 dst, src0, src1=
   v_cmpx_o_u64 \dst, \src0, \src1 
.endm

.macro _v_cmpx_u_i16 dst, src0, src1=
   v_cmpx_u_i16 \dst, \src0, \src1 
.endm

.macro _v_cmpx_u_i32 dst, src0, src1=
   v_cmpx_u_i32 \dst, \src0, \src1 
.endm

.macro _v_cmpx_u_i64 dst, src0, src1=
   v_cmpx_u_i64 \dst, \src0, \src1 
.endm

.macro _v_cmpx_u_u16 dst, src0, src1=
   v_cmpx_u_u16 \dst, \src0, \src1 
.endm

.macro _v_cmpx_u_u32 dst, src0, src1=
   v_cmpx_u_u32 \dst, \src0, \src1 
.endm

.macro _v_cmpx_u_u64 dst, src0, src1=
   v_cmpx_u_u64 \dst, \src0, \src1 
.endm
.macro _v_mac_f32 c:req, a:req, b:req
    v_fmac_f32 \c, \a, \b
.endmacro

/* scale global load macros */
.macro _s_load_b32 dst base offset
    s_load_dword \dst \base \offset
.endm

.macro _s_load_b64 dst base offset
    s_load_dwordx2 \dst \base \offset
.endm

.macro _s_load_b128 dst base offset
    s_load_dwordx4 \dst \base \offset
.endm

.macro _s_load_b256 dst base offset
    s_load_dwordx8 \dst \base \offset
.endm

.macro _s_load_b512 dst base offset
    s_load_dwordx16 \dst \base \offset
.endm


/* ds operation macros */
.macro _ds_load_u8 dst src offset
    ds_read_u8 \dst \src \offset
.endm

.macro _ds_load_u8_d16_hi dst src offset
    ds_read_u8_d16_hi \dst \src \offset
.endm

.macro _ds_load_u16 dst src offset
    ds_read_u16 \dst \src \offset
.endm

.macro _ds_load_u16_d16_hi dst src offset
    ds_read_u16_d16_hi \dst \src \offset
.endm

.macro _ds_load_b32 dst src offset
    ds_read_b32 \dst \src \offset
.endm

.macro _ds_load_b64 dst src offset
    ds_read_b64 \dst \src \offset
.endm

.macro _ds_load_b128 dst src offset
    ds_read_b128 \dst \src \offset
.endm

.macro _ds_store_b8 dst src offset
    ds_write_b8 \dst \src \offset
.endm

.macro _ds_store_b8_d16_hi dst src offset
    ds_write_b8_d16_hi \dst \src \offset
.endm

.macro _ds_store_b16 dst src offset
    ds_write_b16 \dst \src \offset
.endm

.macro _ds_store_b16_d16_hi dst src offset
    ds_write_b16_d16_hi \dst \src \offset
.endm

.macro _ds_store_b32 dst src offset
    ds_write_b32 \dst \src \offset
.endm

.macro _ds_store_b64 dst src offset
    ds_write_b64 \dst \src \offset
.endm

.macro _ds_store_b128 dst src offset
    ds_write_b128 \dst \src \offset
.endm

.macro _ds_load2_b32 dst src offset1 offset2
    ds_read2_b32 \dst \src \offset1 \offset2
.endm

.macro _ds_load2_b64 dst src offset1 offset2
    ds_read2_b64 \dst \src \offset1 \offset2
.endm

.macro _ds_store2_b32 dst src offset1 offset2
    ds_write2_b32 \dst \src \offset1 \offset2
.endm

.macro _ds_store2_b64 dst src offset1 offset2
    ds_write2_b64 \dst \src \offset1 \offset2
.endm


/* buffer memory operation macros */
.macro _buffer_load_b32 dst voffset base soffset offen ioffset md0 md1 md2
    buffer_load_dword \dst \voffset \base \soffset \offen \ioffset \md0 \md1 \md2
.endm

.macro _buffer_load_b64 dst voffset base soffset offen ioffset md0 md1 md2
    buffer_load_dwordx2 \dst \voffset \base \soffset \offen \ioffset \md0 \md1 \md2
.endm

.macro _buffer_load_b96 dst voffset base soffset offen ioffset md0 md1 md2
    buffer_load_dwordx3 \dst \voffset \base \soffset \offen \ioffset \md0 \md1 \md2
.endm

.macro _buffer_load_b128 dst voffset base soffset offen ioffset md0 md1 md2
    buffer_load_dwordx4 \dst \voffset \base \soffset \offen \ioffset \md0 \md1 \md2
.endm

.macro _buffer_load_d16_b16 dst voffset base soffset offen ioffset md0 md1 md2
    buffer_load_short_d16 \dst \voffset \base \soffset \offen \ioffset \md0 \md1 \md2
.endm

.macro _buffer_load_d16_hi_b16 dst voffset base soffset offen ioffset md0 md1 md2
    buffer_load_short_d16_hi \dst \voffset \base \soffset \offen \ioffset \md0 \md1 \md2
.endm

.macro _buffer_load_d16_u8 dst voffset base soffset offen ioffset md0 md1 md2
    buffer_load_ubyte_d16 \dst \voffset \base \soffset \offen \ioffset \md0 \md1 \md2
.endm

.macro _buffer_load_d16_hi_u8 dst voffset base soffset offen ioffset md0 md1 md2
    buffer_load_ubyte_d16_hi \dst \voffset \base \soffset \offen \ioffset \md0 \md1 \md2
.endm

.macro _buffer_load_u16 dst voffset base soffset offen ioffset md0 md1 md2
    buffer_load_ushort \dst \voffset \base \soffset \offen \ioffset \md0 \md1 \md2
.endm

.macro _buffer_load_b32_dtl voffset base soffset offen ioffset md0 md1 md2
    buffer_load_dword \voffset \base \soffset \offen \ioffset \md0 \md1 \md2
.endm

.macro _buffer_load_b64_dtl voffset base soffset offen ioffset md0 md1 md2
    buffer_load_dwordx2 \voffset \base \soffset \offen \ioffset \md0 \md1 \md2
.endm

.macro _buffer_load_b128_dtl voffset base soffset offen ioffset md0 md1 md2
    buffer_load_dwordx4 \voffset \base \soffset \offen \ioffset \md0 \md1 \md2
.endm

.macro _buffer_load_u16_dtl voffset base soffset offen ioffset md0 md1 md2
    buffer_load_ushort \voffset \base \soffset \offen \ioffset \md0 \md1 \md2
.endm

.macro _buffer_store_b32 src voffset base soffset offen ioffset md0 md1 md2
    buffer_store_dword \src \voffset \base \soffset \offen \ioffset \md0 \md1 \md2
.endm

.macro _buffer_store_b64 src voffset base soffset offen ioffset md0 md1 md2
    buffer_store_dwordx2 \src \voffset \base \soffset \offen \ioffset \md0 \md1 \md2
.endm

.macro _buffer_store_b96 src voffset base soffset offen ioffset md0 md1 md2
    buffer_store_dwordx3 \src \voffset \base \soffset \offen \ioffset \md0 \md1 \md2
.endm

.macro _buffer_store_b128 src voffset base soffset offen ioffset md0 md1 md2
    buffer_store_dwordx4 \src \voffset \base \soffset \offen \ioffset \md0 \md1 \md2
.endm

.macro _buffer_store_b16 src voffset base soffset offen ioffset md0 md1 md2
    buffer_store_short \src \voffset \base \soffset \offen \ioffset \md0 \md1 \md2
.endm

.macro _buffer_store_d16_hi_b16 src voffset base soffset offen ioffset md0 md1 md2
    buffer_store_short_d16_hi \src \voffset \base \soffset \offen \ioffset \md0 \md1 \md2
.endm

.macro _buffer_store_b8 src voffset base soffset offen ioffset md0 md1 md2
    buffer_store_byte \src \voffset \base \soffset \offen \ioffset \md0 \md1 \md2
.endm

.macro _buffer_store_d16_hi_b8 src voffset base soffset offen ioffset md0 md1 md2
    buffer_store_byte_d16_hi \src \voffset \base \soffset \offen \ioffset \md0 \md1 \md2
.endm

.macro _buffer_atomic_cmpswap_b32 dst voffset base soffset offen ioffset md0 md1 md2
    buffer_atomic_cmpswap \dst \voffset \base \soffset \offen \ioffset \md0 \md1 \md2
.endm

.macro _buffer_atomic_cmpswap_b64 dst voffset base soffset offen ioffset md0 md1 md2
    buffer_atomic_cmpswap_x2 \dst \voffset \base \soffset \offen \ioffset \md0 \md1 \md2
.endm


/* buffer memory operation macros */
.macro _global_load_b32 dst base src ioffset md0 md1 md2
    global_load_dword \dst \base \src \ioffset \md0 \md1 \md2
.endm

.macro _global_load_b64 dst base src ioffset md0 md1 md2
    global_load_dwordx2 \dst \base \src \ioffset \md0 \md1 \md2
.endm

.macro _global_load_b96 dst base src ioffset md0 md1 md2
    global_load_dwordx3 \dst \base \src \ioffset \md0 \md1 \md2
.endm

.macro _global_load_b128 dst base src ioffset md0 md1 md2
    global_load_dwordx4 \dst \base \src \ioffset \md0 \md1 \md2
.endm

.macro _global_load_d16_b16 dst base src ioffset md0 md1 md2
    global_load_short_d16 \dst \base \src \ioffset \md0 \md1 \md2
.endm

.macro _global_load_d16_hi_b16 dst base src ioffset md0 md1 md2
    global_load_short_d16_hi \dst \base \src \ioffset \md0 \md1 \md2
.endm

.macro _global_load_d16_u8 dst base src ioffset md0 md1 md2
    global_load_ubyte_d16 \dst \base \src \ioffset \md0 \md1 \md2
.endm

.macro _global_load_d16_hi_u8 dst base src ioffset md0 md1 md2
    global_load_ubyte_d16_hi \dst \base \src \ioffset \md0 \md1 \md2
.endm

.macro _global_load_u16 dst base src ioffset md0 md1 md2
    global_load_ushort \dst \base \src \ioffset \md0 \md1 \md2
.endm

.macro _global_store_b32 base src src2 md0 md1 md2
    global_store_dword \base \src \src2 \md0 \md1 \md2
.endm

.macro _global_store_b64 base src src2 md0 md1 md2
    global_store_dwordx2 \base \src \src2 \md0 \md1 \md2
.endm

.macro _global_store_b96 base src src2 md0 md1 md2
    global_store_dwordx3 \base \src \src2 \md0 \md1 \md2
.endm

.macro _global_store_b128 base src src2 md0 md1 md2
    global_store_dwordx4 \base \src \src2 \md0 \md1 \md2
.endm

.macro _global_store_d16_b16 base src src2 md0 md1 md2
    global_store_short \base \src \src2 \md0 \md1 \md2
.endm

.macro _global_store_d16_hi_b16 base src src2 md0 md1 md2
    global_store_short_d16_hi \base \src \src2 \md0 \md1 \md2
.endm

.macro _global_store_d16_u8 base src src2 md0 md1 md2
    global_store_ubyte_d16 \base \src \src2 \md0 \md1 \md2
.endm

.macro _global_store_d16_hi_u8 base src src2 md0 md1 md2
    global_store_ubyte_d16_hi \base \src \src2 \md0 \md1 \md2
.endm

.macro _global_store_u16 base src src2 md0 md1 md2
    global_store_ushort \base \src \src2 \md0 \md1 \md2
.endm

.macro _global_atomic_cmpswap_b32 tmp base data src ioffset md
    global_atomic_cmpswap \tmp \base \data \src \ioffset \md
.endm

.macro _global_atomic_cmpswap_b64 tmp base data src ioffset md
    global_atomic_cmpswap_x2 \tmp \base \data \src \ioffset \md
.endm


/******************************************/
/* Magic div and mod functions            */
/******************************************/
.macro V_MAGIC_DIV dstIdx:req, dividend:req, magicNumber:req, magicShift:req, magicA:req
    v_mul_hi_u32 v[\dstIdx+1], \dividend, \magicNumber
    v_mul_lo_u32 v[\dstIdx+0], \dividend, \magicA
    _v_add_u32 v[\dstIdx+0], v[\dstIdx+0], v[\dstIdx+1]
    v_lshrrev_b32 v[\dstIdx+0], \magicShift, v[\dstIdx+0]
.endm

/******************************************/
/* VGPR Assignments                       */
/******************************************/
/* ValuC range: [0-0), serializedStore enabled */
.set vgprValuC, 0
/* ValuA/B   Xn=PLR buffer idx,  In=InnerUnroll idx */
.set vgprValuA_X0_I0, 0
.set vgprValuA_X1_I0, 1
.set vgprValuA_X2_I0, 2
.set vgprValuA_X3_I0, 3
.set vgprValuA_X4_I0, 4
.set vgprValuA_X5_I0, 5
.set vgprValuA_X6_I0, 6
.set vgprValuA_X7_I0, 7
.set vgprG2LA, 80
.set vgprValuB_X0_I0, 8
.set vgprValuB_X1_I0, 16
.set vgprValuB_X2_I0, 24
.set vgprValuB_X3_I0, 32
.set vgprValuB_X4_I0, 40
.set vgprValuB_X5_I0, 48
.set vgprValuB_X6_I0, 56
.set vgprValuB_X7_I0, 64
.set vgprG2LB, 88
.set vgprLocalWriteAddrA, 72
.set vgprLocalWriteAddrB, 73
.set vgprGlobalReadOffsetA, 74
.set vgprGlobalReadOffsetB, 76
.set vgprLocalReadAddrA, 104
.set vgprLocalReadAddrB, 105
.set vgprSerial, 106
/* Num VGPR=128 */
/* Num AccVGPR=128 */

/******************************************/
/* SGPR Assignments                       */
/******************************************/
.set sgprKernArgAddress, 0 // (2)
.set sgprWorkGroup0, 2 // (1)
.set sgprWorkGroup1, 3 // (1)
.set sgprWorkGroup2, 4 // (1)
.set sgprLoopCounterL, 5 // (1)
.set sgprOrigLoopCounter, 6 // (1)
.set sgprSrdA, 8 // (4)
.set sgprSrdB, 12 // (4)
.set sgprSrdD, 16 // (4)
.set sgprSrdC, 20 // (4)
.set sgprTensor2dSizeA, 24 // (2)
.set sgprTensor2dSizeB, 26 // (2)
.set sgprAddressD, 28 // (2)
.set sgprAddressC, 30 // (2)
.set sgprAddressA, 32 // (2)
.set sgprAddressB, 34 // (2)
.set sgprAlpha, 36 // (1)
.set sgprBeta, 37 // (1)
.set sgprStridesD, 38 // (2)
.set sgprStridesC, 40 // (2)
.set sgprStridesA, 42 // (2)
.set sgprStridesB, 44 // (2)
.set sgprSizesFree, 46 // (3)
.set sgprSizesSum, 49 // (1)
.set sgprOrigStaggerUIter, 50 // (1)
.set sgprNumWorkGroups0, 51 // (1)
.set sgprNumWorkGroups1, 52 // (1)
.set sgprShadowLimitA, 0 // (2)
.set sgprShadowLimitB, 28 // (2)
.set sgprStaggerUIter, 7 // (1)
.set sgprWrapUA, 30 // (2)
.set sgprWrapUB, 32 // (2)
.set sgprGlobalReadIncsA, 34 // (1)
.set sgprGlobalReadIncsB, 35 // (1)
/* max SGPR=60 */

/* Size Assignments */
.set sgprSizeI, sgprSizesFree+0
.set sgprSizeJ, sgprSizesFree+1
.set sgprSizeK, sgprSizesFree+2
.set sgprSizeL, sgprSizesSum+0

/* Stride Assignments */
.set constStrideD0I, 1
.set sgprStrideD1J, sgprStridesD+0
.set sgprStrideDK, sgprStridesD+1
.set constStrideC0I, 1
.set sgprStrideC1J, sgprStridesC+0
.set sgprStrideCK, sgprStridesC+1
.set constStrideA0I, 1
.set sgprStrideAL, sgprStridesA+0
.set sgprStrideAK, sgprStridesA+1
.set constStrideBL, 1
.set sgprStrideB1J, sgprStridesB+0
.set sgprStrideBK, sgprStridesB+1

.set MT0, 128
.set MT1, 256
.set DepthU, 64
.set GSU, 1
.set BpeA, 1
.set BpeALog2, 0
.set BpeB, 1
.set BpeBLog2, 0
/* Number of elements to shift-left SRD */
.set SrdShiftLeftA, 16
.set SrdShiftLeftB, 16
/* 2GB limit - set offsets to -1 to exceed this and clamp */
.set BufferLimitA, 0xffffffff
.set BufferLimitB, 0xffffffff
.set BufferOOB, 0xfffff000

/******************************************/
/* Bits 127:96 of SRD.                    */
/* hex: 0x00020000                        */
/* dst_sel_x (3b): 0                      */
/* dst_sel_y (3b): 0                      */
/* dst_sel_z (3b): 0                      */
/* dst_sel_w (3b): 0                      */
/* num_format (3b): 0                     */
/* data_format (4b): 4                    */
/* user_vm_enable (1b): 0                 */
/* user_vm_mode (1b): 0                   */
/* index_stride (2b): 0                   */
/* add_tid_enable (1b): 0                 */
/* _unusedA (3b): 0                       */
/* nv (1b): 0                             */
/* _unusedB (2b): 0                       */
/* type (2b): 0                           */
/******************************************/
.set Srd127_96, 0x00020000

/* Global Offset A */
.macro GLOBAL_OFFSET_A vgprAddr:req vgprOffset0I:req vgprOffsetL:req vgprTmp:req
v_mul_lo_u32 v[\vgprTmp+0], s[sgprStrideAL], v[\vgprOffsetL] // mul d1 lower
_v_add_co_u32 v[\vgprAddr+0], vcc, v[\vgprOffset0I], v[\vgprTmp+0] // accumulate K lower
_v_add_u32 v[\vgprAddr+0], 0x10, v[\vgprAddr+0]    // add prepad for pointer shift
                                                   // offset *= bytes/element (multiplier is 1, do nothing)
.endm

/* Global Offset B */
.macro GLOBAL_OFFSET_B vgprAddr:req vgprOffsetL:req vgprOffset1J:req vgprTmp:req
v_mul_lo_u32 v[\vgprTmp+0], s[sgprStrideB1J], v[\vgprOffset1J] // mul d1 lower
_v_add_co_u32 v[\vgprAddr+0], vcc, v[\vgprOffsetL], v[\vgprTmp+0] // accumulate K lower
_v_add_u32 v[\vgprAddr+0], 0x10, v[\vgprAddr+0]    // add prepad for pointer shift
                                                   // offset *= bytes/element (multiplier is 1, do nothing)
.endm

/******************************************/
/* Dynamic Scalar Divide: vQuotient=vDividend/vDivisor; vRemainder=vDividend%vDivisor; */
/******************************************/
.macro DYNAMIC_VECTOR_DIVIDE vQuotient vRemainder vDividend vDivisor vTmp0 vTmp1 sTmp
v_cvt_f32_u32 v[\vQuotient], v[\vDivisor]          // 
v_rcp_f32 v[\vQuotient], v[\vQuotient]             // 
v_mul_f32 v[\vQuotient], 0x4f800000, v[\vQuotient] // 
v_cvt_u32_f32 v[\vQuotient], v[\vQuotient]         // 
v_mul_lo_u32 v[\vRemainder], v[\vDivisor], v[\vQuotient] // 
v_mul_hi_u32 v[\vTmp0], v[\vDivisor], v[\vQuotient] // 
_v_sub_co_u32 v[\vTmp1], vcc, 0x0, v[\vRemainder]  // 
v_cmp_ne_i32 s[\sTmp:\sTmp+1], 0x0, v[\vTmp0]      // 
v_cndmask_b32 v[\vRemainder], v[\vTmp1], v[\vRemainder], s[\sTmp:\sTmp+1] // 
v_mul_hi_u32 v[\vRemainder], v[\vRemainder], v[\vQuotient] // 
_v_sub_co_u32 v[\vTmp0], vcc, v[\vQuotient], v[\vRemainder] // 
_v_add_co_u32 v[\vQuotient], vcc, v[\vQuotient], v[\vRemainder] // 
v_cndmask_b32 v[\vQuotient], v[\vQuotient], v[\vTmp0], s[\sTmp:\sTmp+1] // 
v_mul_hi_u32 v[\vQuotient], v[\vQuotient], v[\vDividend] // 
v_mul_lo_u32 v[\vRemainder], v[\vQuotient], v[\vDivisor] // 
_v_sub_co_u32 v[\vTmp0], vcc, v[\vDividend], v[\vRemainder] // 
v_cmp_ge_u32 s[\sTmp:\sTmp+1], v[\vDividend], v[\vRemainder] // 
_v_add_co_u32 v[\vRemainder], vcc, 0x1, v[\vQuotient] // 
_v_add_co_u32 v[\vTmp1], vcc, -1, v[\vQuotient]    // 
v_cmp_le_u32 vcc, v[\vDivisor], v[\vTmp0]          // 
s_and_b64 vcc, s[\sTmp:\sTmp+1], vcc               // 
v_cndmask_b32 v[\vQuotient], v[\vQuotient], v[\vRemainder], vcc // 
v_cndmask_b32 v[\vQuotient], v[\vTmp1], v[\vQuotient], s[\sTmp:\sTmp+1] // 
v_cmp_ne_i32 vcc, 0x0, v[\vDivisor]                // 
v_cndmask_b32 v[\vQuotient], -1, v[\vQuotient], vcc // final result
v_mul_lo_u32 v[\vRemainder], v[\vQuotient], v[\vDivisor] // 
_v_sub_co_u32 v[\vRemainder], vcc, v[\vDividend], v[\vRemainder] // final result
.endm


	;; [unrolled: 1-line block ×3, first 2 shown]
/******************************************/
/* Allocate Resources                     */
/******************************************/

Cijk_Ailk_Bljk_I8II_BH_MT128x256x64_MI32x32x8x1_SE_1LDSB1_APM1_ABV0_ACED0_AF0EM1_AF1EM1_AMAS0_ASE_ASGT_ASLT_ASEM1_AAC0_BL1_BS1_CLR0_DTVA0_DVO0_ETSP_EPS1_EMLL0_FL0_GLVWA16_GLVWB16_GRPM1_GRVW16_GSU1_GSUASB_GLS0_ISA90a_IU1_K1_KLA_LBSPPA0_LBSPPB128_LPA8_LPB16_LDL1_LRVW16_LWPMn1_LDW0_FMA_MIAV0_MO40_MMFGLC_NTA0_NTB0_NTC0_NTD0_NEPBS4_NLCA1_NLCB1_ONLL1_OPLV0_PK0_PAP0_PGR1_PLR9_SIA3_SS0_SU32_SUM4_SUS256_SCIUI1_SPO0_SRVW4_SSO0_SVW4_SNLL0_TSGRA0_TSGRB0_TT1_256_TLDS1_UMLDSA0_UMLDSB1_USFGROn1_VAW1_VSn1_VW1_VWB1_VFLRP0_WSGRA1_WSGRB1_WG128_2_1_WGM1_preloaded: // Kernel start when preloading

/* Load Kernel Args */
_s_load_b512 s[24:39], s[sgprKernArgAddress:sgprKernArgAddress+1], 0x0 // 
_s_load_b256 s[40:47], s[sgprKernArgAddress:sgprKernArgAddress+1], 0x40 // 
_s_load_b128 s[48:51], s[sgprKernArgAddress:sgprKernArgAddress+1], 0x60 // 
_s_load_b32 s52, s[sgprKernArgAddress:sgprKernArgAddress+1], 0x70 // 
s_mov_b32 m0, 0x6a00                               // LDS clamp at 27136 bytes
v_mov_b32 v[vgprSerial], v0                        // thread serial id

/******************************************/
/* Local Read Addresses                   */
/******************************************/


/* local read addresses: tile assignments a/b */

/*lr0I*/
v_and_b32 v1, 63, v[vgprSerial]                    // 0. thread id in wave: wtid = tid % wavelength(64)
v_and_b32 v0, 31, v1                               // 1. N offset: nIdx = wtid % MI_N(32)
                                                   // 1. N offset: nOffset = nIdx * nStride(1) (multiplier is 1, do nothing)
                                                   // 2. block offset: bnIdx = bnIdx % num1DBlocks(1) is 0. do nothing
                                                   // 4. apply VectorWidth: bnOffset = bnOffset * vw(1) (multiplier is 1, do nothing)
v_lshrrev_b32 v1, 5, v1                            // 5. K offset: kIdx = wtid / (MIN(32) * MIBB(1))
s_mov_b32 s7, 0x880                                // 5. K offset: lrKOffset = kIdx * mStride(2176)
v_mul_lo_u32 v1, s7, v1                            // 5. K offset: lrKOffset = kIdx * mStride(2176)
_v_add_u32 v0, v1, v0                              // 6. offset in wave: lrOffset = bnOffset + lrKOffset
v_lshrrev_b32 v2, 6, v[vgprSerial]                 // 7. wave offset in N dimen: wtid = tid / dividedForWaveId(64)
v_and_b32 v1, 3, v2                                // 7. wave offset in M dimen: wtid0 = wtid / num1DWaves(4)
v_lshlrev_b32 v1, 0x5, v1                          // 7. wave offset in M dimen: wOffset = wtid0 * W0Stride(32)
_v_add_u32 v0, v1, v0                              // 8. final local read offset: flrOffset = lrOffset + WOffset
/*lr1J*/
v_and_b32 v2, 63, v[vgprSerial]                    // 0. thread id in wave: wtid = tid % wavelength(64)
v_and_b32 v1, 31, v2                               // 1. N offset: nIdx = wtid % MI_N(32)
v_lshlrev_b32 v1, 0x6, v1                          // 1. N offset: nOffset = nIdx * nStride(64)
                                                   // 2. block offset: bnIdx = bnIdx % num1DBlocks(1) is 0. do nothing
                                                   // 4. apply VectorWidth: bnOffset = bnOffset * vw(1) (multiplier is 1, do nothing)
v_lshrrev_b32 v2, 5, v2                            // 5. K offset: kIdx = wtid / (MIN(32) * MIBB(1))
v_lshlrev_b32 v2, 0x4, v2                          // 5. K offset: lrKOffset = kIdx * mStride(16)
_v_add_u32 v1, v2, v1                              // 6. offset in wave: lrOffset = bnOffset + lrKOffset


/* local read addresses: final offsets a */

v_lshlrev_b32 v[vgprLocalReadAddrA], 0x0, v0       // Final Offset: offset = (lro0)*bpe


/* local read addresses: final offsets b */

v_lshlrev_b32 v[vgprLocalReadAddrB], 0x0, v1       // Final Offset: offset = (lro1)*bpe
v_lshrrev_b32 v0, 7, v[vgprLocalReadAddrB]         // Final Offset: padding 16 per block 128
v_lshlrev_b32 v0, 0x4, v0                          // Final Offset: padding 16 per block 128
_v_add_u32 v[vgprLocalReadAddrB], v0, v[vgprLocalReadAddrB] // Final Offset: add padding 16 per block 128


/* local read addresses: declare addresses a */

/* N/A */


/* local read addresses: declare addresses b */

_v_add_co_u32 v[vgprLocalReadAddrB+0], vcc, 0x2200, v[vgprLocalReadAddrB+0] //  += LdsOffsetB (lower)


/* global read addresses: tile offset assignment a */

/* LVCA = 8 */
/* v0 = (local)groA-tile = serial%LVCA (note (wgA*MTA) will be added to SRD) */
/* v1 = groA-unroll = serial/LVCA */
v_and_b32 v2, 63, v[vgprSerial]                    // v2 = v[vgprSerial] % 64
v_lshrrev_b32 v1, 3, v2                            // v1 = v2 / 8
v_and_b32 v0, 7, v2                                // v0 = v2 % 8
v_readfirstlane_b32 s54, v[vgprSerial]             // WaveIdxWavefrontWidth
s_lshr_b32 s54, s54, 0x6                           // WaveId
s_mul_i32 s54, s54, 16                             // Global Read Wave: each wave loads continuous lsp(8)*nrp(2) columns
_v_add_u32 v1, s54, v1                             // Global Read Wave: add back to column index
/* gro-tile *= glvw */
v_lshlrev_b32 v0, 0x4, v0                          // v0 = v0 * 16


/* global read addresses: tile offset assignment b */

/* LVCB = 4 */
/* v2 = (local)groB-tile = serial/LVCB (note (wgB*MTB) will be added to SRD) */
/* v3 = groB-unroll = serial%LVCB */
v_and_b32 v4, 63, v[vgprSerial]                    // v4 = v[vgprSerial] % 64
v_lshrrev_b32 v2, 2, v4                            // v2 = v4 / 4
v_and_b32 v3, 3, v4                                // v3 = v4 % 4
v_readfirstlane_b32 s54, v[vgprSerial]             // WaveIdxWavefrontWidth
s_lshr_b32 s54, s54, 0x6                           // WaveId
s_mul_i32 s54, s54, 64                             // Global Read Wave: each wave loads continuous lsp(16)*nrp(4) columns
_v_add_u32 v2, s54, v2                             // Global Read Wave: add back to column index
/* gro-unroll *= glvw */
v_lshlrev_b32 v3, 0x4, v3                          // v3 = v3 * 16


/******************************************/
/* Local Write Addresses                  */
/******************************************/

/* lwaTileAssignmentA = v0 */

/* lwaTileAssignmentB = v2 */

/* lwaUnrollAssignmentA = v1 */

/* lwaUnrollAssignmentB = v3 */


/* local write addresses: first offset a */

v_mul_u32_u24 v[vgprLocalWriteAddrA], 0x88, v1     // lwAL**(MTA + PAD)
_v_add_lshl_u32 v[vgprLocalWriteAddrA], v0, v[vgprLocalWriteAddrA], 0x0 // lwFOA = (lwAA + lwAL*(MT0I+PAD))*bpe


/* local write addresses: first offset b */

v_mul_u32_u24 v[vgprLocalWriteAddrB], 0x40, v2     // lwBL**(DepthU_Compute + PAD)
_v_add_lshl_u32 v[vgprLocalWriteAddrB], v3, v[vgprLocalWriteAddrB], 0x0 // lwFOB = (lwBB + lwBL*(DepthU+PAD))*bpe
v_lshrrev_b32 v4, 7, v[vgprLocalWriteAddrB]        // padding 16 per block 128
v_lshlrev_b32 v4, 0x4, v4                          // padding 16 per block 128
_v_add_u32 v[vgprLocalWriteAddrB], v4, v[vgprLocalWriteAddrB] // add padding 16 per block 128
_v_add_co_u32 v[vgprLocalWriteAddrB], vcc, 0x2200, v[vgprLocalWriteAddrB] // lwFOB = lwB1J + lwBL*MT1J + LDS_OFFSET_B=8704*1


	;; [unrolled: 1-line block ×7, first 2 shown]
s_waitcnt lgkmcnt(0)                               // wait for 116 bytes of kern args
s_mov_b64 s[sgprSrdC+0:sgprSrdC+0+1], s[sgprAddressC+0:sgprAddressC+0+1] // copy addressC
s_mov_b64 s[sgprSrdD+0:sgprSrdD+0+1], s[sgprAddressD+0:sgprAddressD+0+1] // copy addressD
s_sub_u32 s[sgprSrdA+0], s[sgprAddressA+0], 16     // pre-pad to make room for possible pointer shift
s_subb_u32 s[sgprSrdA+1], s[sgprAddressA+1], 0     // pre-pad to make room for possible pointer shift
s_sub_u32 s[sgprSrdB+0], s[sgprAddressB+0], 16     // pre-pad to make room for possible pointer shift
s_subb_u32 s[sgprSrdB+1], s[sgprAddressB+1], 0     // pre-pad to make room for possible pointer shift

.set AddressD, UNDEF
.set AddressC, UNDEF
.set AddressA, UNDEF
.set AddressB, UNDEF

/* Short circuit condition if Alpha == 0, then sumDims=0 */
s_cmp_eq_u32 s[sgprAlpha], 0                       // Alpha == 0 ?
s_cmov_b32 s[sgprSizesSum+0], 0x0                  // Set summation dim=0 if Alpha == 0


	;; [unrolled: 1-line block ×3, first 2 shown]
/******************************************/
/* Begin setupNewTile, isPap=False           */
/******************************************/


/* global read addresses: work-group */

/* graWorkGroup mapping */


/* global read addresses: unroll assignment a */

/* v1 */


/* global read addresses: unroll assignment b */

/* v3 */


/* global read addresses: other free assignments */

/* s[sgprWorkGroup2] */


/* global read addresses: tile offsets a */

v_mov_b32 v4, v0                                   // groA0I_0


/* global read addresses: tile offsets b */

v_mov_b32 v5, v2                                   // groB1J_0
_v_add_co_u32 v6, vcc, 16, v5                      // groB1J_1 += LSPB
_v_add_co_u32 v7, vcc, 16, v6                      // groB1J_2 += LSPB
_v_add_co_u32 v8, vcc, 16, v7                      // groB1J_3 += LSPB


/* global read addresses: unroll offsets a */

v_mov_b32 v9, v1                                   // groAL_0
_v_add_co_u32 v10, vcc, 8, v9                      // groAL_1 + LSPA


/* global read addresses: unroll offsets b */

v_mov_b32 v11, v3                                  // groBL_0


/* global read addresses: shift a */

s_mul_i32 s53, s[sgprWorkGroup0], 128              // WorkGroup[01] * MT
s_sub_u32 s53, s[sgprSizeI], s53                   // edge = Size0I - WG*MT
s_sub_u32 s53, s53, 16                             // edge -= margin(16)
v_mov_b32 v12, s53                                 // edge vgpr = Size0I- WG*MT - margin(16)
v_min_i32 v4, v12, v4                              // offset = (offset < edge) ? offset(v4) : edge(v12)


/* global read addresses: final offsets a */

GLOBAL_OFFSET_A vgprGlobalReadOffsetA+0,  4,  9, 12 // gROA_0_0_0_0
GLOBAL_OFFSET_A vgprGlobalReadOffsetA+1,  4, 10, 12 // gROA_0_0_1_0


/* global read addresses: final offsets b */

GLOBAL_OFFSET_B vgprGlobalReadOffsetB+0, 11,  5, 12 // gROB_0_0_0_0
GLOBAL_OFFSET_B vgprGlobalReadOffsetB+1, 11,  6, 12 // gROB_0_0_1_0
GLOBAL_OFFSET_B vgprGlobalReadOffsetB+2, 11,  7, 12 // gROB_0_0_2_0
GLOBAL_OFFSET_B vgprGlobalReadOffsetB+3, 11,  8, 12 // gROB_0_0_3_0


/* global read addresses: addresses a */

/* max read offset = size[n] * stride[n-1] */
s_mul_hi_u32 s59, s[sgprWorkGroup0], 128           // WorkGroup[01] * MT
s_mul_i32 s58, s[sgprWorkGroup0], 128              // WorkGroup[01] * MT
s_sub_u32 s[sgprShadowLimitA+0], s[sgprTensor2dSizeA], s58 // sub tileStart
s_subb_u32 s[sgprShadowLimitA+1], s[sgprTensor2dSizeA+1], s59 // sub tileStart
s_lshl_b64 s[sgprShadowLimitA:sgprShadowLimitA+1], s[sgprShadowLimitA:sgprShadowLimitA+1], 0x0 // Set limit to use bytes
s_add_u32 s[sgprShadowLimitA+0], s[sgprShadowLimitA+0], 16 // extend limit for pre-pad
s_addc_u32 s[sgprShadowLimitA+1], s[sgprShadowLimitA+1], 0 // extend limit for pre-pad
s_cmp_eq_u32 s[sgprShadowLimitA+1], 0              // are we within 2^32?
s_cselect_b32 s[sgprSrdA+2], s[sgprShadowLimitA+0], BufferLimitA // Move shadow to real if we are within 2^32
s_mul_hi_u32 s57, s[sgprStrideAK], s[sgprWorkGroup2] // Stride*WG
s_mul_i32 s56, s[sgprStrideAK], s[sgprWorkGroup2]  // Stride*WG
s_add_u32 s58, s58, s56                            // accum wg term to tilestart
s_addc_u32 s59, s59, s57                           // accum wg term to tilestart
                                                   // tileStart *= BPE (multiplier is 1, do nothing)
s_add_u32 s[sgprSrdA+0], s[sgprSrdA+0], s58        // SRD base = Address+ tileStart0
s_addc_u32 s[sgprSrdA+1], s[sgprSrdA+1], s59       // SRD base = Address+ tileStart1
s_mov_b32 s[sgprSrdA+3], Srd127_96                 // Set bits 127_96 in SRD


/* global read addresses: addresses b */

/* max read offset = size[n] * stride[n-1] */
s_mul_hi_u32 s59, s[sgprWorkGroup1], 256           // WorkGroup[01] * MT
s_mul_i32 s58, s[sgprWorkGroup1], 256              // WorkGroup[01] * MT
s_mul_hi_u32 s59, s58, s[sgprStrideB1J]            // tlu=0, scaled tile-offset by stride
s_mul_i32 s58, s58, s[sgprStrideB1J]               // tlu=0, scaled tile-offset by stride
s_sub_u32 s[sgprShadowLimitB+0], s[sgprTensor2dSizeB], s58 // sub tileStart
s_subb_u32 s[sgprShadowLimitB+1], s[sgprTensor2dSizeB+1], s59 // sub tileStart
s_lshl_b64 s[sgprShadowLimitB:sgprShadowLimitB+1], s[sgprShadowLimitB:sgprShadowLimitB+1], 0x0 // Set limit to use bytes
s_add_u32 s[sgprShadowLimitB+0], s[sgprShadowLimitB+0], 16 // extend limit for pre-pad
s_addc_u32 s[sgprShadowLimitB+1], s[sgprShadowLimitB+1], 0 // extend limit for pre-pad
s_cmp_eq_u32 s[sgprShadowLimitB+1], 0              // are we within 2^32?
s_cselect_b32 s[sgprSrdB+2], s[sgprShadowLimitB+0], BufferLimitB // Move shadow to real if we are within 2^32
s_mul_hi_u32 s57, s[sgprStrideBK], s[sgprWorkGroup2] // Stride*WG
s_mul_i32 s56, s[sgprStrideBK], s[sgprWorkGroup2]  // Stride*WG
s_add_u32 s58, s58, s56                            // accum wg term to tilestart
s_addc_u32 s59, s59, s57                           // accum wg term to tilestart
                                                   // tileStart *= BPE (multiplier is 1, do nothing)
s_add_u32 s[sgprSrdB+0], s[sgprSrdB+0], s58        // SRD base = Address+ tileStart0
s_addc_u32 s[sgprSrdB+1], s[sgprSrdB+1], s59       // SRD base = Address+ tileStart1
s_mov_b32 s[sgprSrdB+3], Srd127_96                 // Set bits 127_96 in SRD


/* global read addresses: increments a */

s_mul_i32 s[sgprGlobalReadIncsA+0], DepthU*BpeA, s[sgprStrideAL] // incrA unrollIdx)


/* global read addresses: increments b */

s_mov_b32 s[sgprGlobalReadIncsB+0], DepthU*BpeB    // incrB (unrollIdx)

/* declare loop num iterations */


s_lshr_b32 s[sgprLoopCounterL], s[sgprSizesSum+0], 6 // s[sgprLoopCounterL] = s[sgprSizesSum+0] / 64
s_mov_b32 s[sgprOrigLoopCounter], s[sgprLoopCounterL] // copy loop counter

s_and_b32 s[sgprStaggerUIter], s[sgprOrigStaggerUIter], -1 // Compute actual stagger start for this tile
s_lshl_b32 s[sgprStaggerUIter], s[sgprStaggerUIter], 2 // shift by StaggerUStride


/* SRDs += (StaggerUIter) * GlobalReadIncsA+0 */
s_mul_hi_u32 s57, s[sgprStaggerUIter], s[sgprGlobalReadIncsA+0] //  stagger byte offset
s_mul_i32 s56, s[sgprStaggerUIter], s[sgprGlobalReadIncsA+0] //  stagger byte offset
s_mul_hi_u32 s[sgprWrapUA+1], s[sgprLoopCounterL], s[sgprGlobalReadIncsA+0] // Number of bytes accessed by the unroll loop
s_mul_i32 s[sgprWrapUA+0], s[sgprLoopCounterL], s[sgprGlobalReadIncsA+0] // Number of bytes accessed by the unroll loop
s_sub_u32 s[sgprWrapUA+0], s[sgprGlobalReadIncsA+0], s[sgprWrapUA+0] // remove one iteration
s_subb_u32 s[sgprWrapUA+1], 0, s[sgprWrapUA+1]     // remove one iteration
s_add_u32 s[sgprSrdA+0], s[sgprSrdA+0], s56        // gra SRD += inc(lower)
s_addc_u32  s[sgprSrdA+1], s[sgprSrdA+1], s57      // gra SRD += inc(upper)
s_sub_u32 s[sgprShadowLimitA+0], s[sgprShadowLimitA+0], s56 // limit -= inc)
s_subb_u32 s[sgprShadowLimitA+1], s[sgprShadowLimitA+1], s57 // limit -= inc)
s_cmp_eq_u32 s[sgprShadowLimitA+1], 0              // are we within 2^32?
s_cselect_b32 s[sgprSrdA+2], s[sgprShadowLimitA+0], BufferLimitA // Move shadow to real if we are within 2^32


/* SRDs += (StaggerUIter) * GlobalReadIncsB+0 */
s_mul_hi_u32 s57, s[sgprStaggerUIter], s[sgprGlobalReadIncsB+0] //  stagger byte offset
s_mul_i32 s56, s[sgprStaggerUIter], s[sgprGlobalReadIncsB+0] //  stagger byte offset
s_mul_hi_u32 s[sgprWrapUB+1], s[sgprLoopCounterL], s[sgprGlobalReadIncsB+0] // Number of bytes accessed by the unroll loop
s_mul_i32 s[sgprWrapUB+0], s[sgprLoopCounterL], s[sgprGlobalReadIncsB+0] // Number of bytes accessed by the unroll loop
s_sub_u32 s[sgprWrapUB+0], s[sgprGlobalReadIncsB+0], s[sgprWrapUB+0] // remove one iteration
s_subb_u32 s[sgprWrapUB+1], 0, s[sgprWrapUB+1]     // remove one iteration
s_add_u32 s[sgprSrdB+0], s[sgprSrdB+0], s56        // gra SRD += inc(lower)
s_addc_u32  s[sgprSrdB+1], s[sgprSrdB+1], s57      // gra SRD += inc(upper)
s_sub_u32 s[sgprShadowLimitB+0], s[sgprShadowLimitB+0], s56 // limit -= inc)
s_subb_u32 s[sgprShadowLimitB+1], s[sgprShadowLimitB+1], s57 // limit -= inc)
s_cmp_eq_u32 s[sgprShadowLimitB+1], 0              // are we within 2^32?
s_cselect_b32 s[sgprSrdB+2], s[sgprShadowLimitB+0], BufferLimitB // Move shadow to real if we are within 2^32
s_add_u32 s[sgprStaggerUIter], s[sgprStaggerUIter], 2 // Subtract (PGR-1); StaggerUIter now contains target iteration to wrap

/* local read addresses: init pointers a */


/* localReadInitPointers */

/* local read addresses: init pointers b */


/* localReadInitPointers */


/* prefetch: global -> local */

s_cmp_eq_u32 s[sgprLoopCounterL], 0                // at last iteration?
s_cbranch_scc1 ShadowInitStart_10                  // skip to ShadowInitStart iter b/c numIter==0


_buffer_load_b128 v[vgprG2LA+0:vgprG2LA+0+3], v[vgprGlobalReadOffsetA+0], s[sgprSrdA:sgprSrdA+3], 0, offen offset:0 // G -> Reg 0_0_0_0
_buffer_load_b128 v[vgprG2LA+4:vgprG2LA+4+3], v[vgprGlobalReadOffsetA+1], s[sgprSrdA:sgprSrdA+3], 0, offen offset:0 // G -> Reg 0_0_1_0


_buffer_load_b128 v[vgprG2LB+0:vgprG2LB+0+3], v[vgprGlobalReadOffsetB+0], s[sgprSrdB:sgprSrdB+3], 0, offen offset:0 // G -> Reg 0_0_0_0
_buffer_load_b128 v[vgprG2LB+4:vgprG2LB+4+3], v[vgprGlobalReadOffsetB+1], s[sgprSrdB:sgprSrdB+3], 0, offen offset:0 // G -> Reg 0_0_1_0
_buffer_load_b128 v[vgprG2LB+8:vgprG2LB+8+3], v[vgprGlobalReadOffsetB+2], s[sgprSrdB:sgprSrdB+3], 0, offen offset:0 // G -> Reg 0_0_2_0
_buffer_load_b128 v[vgprG2LB+12:vgprG2LB+12+3], v[vgprGlobalReadOffsetB+3], s[sgprSrdB:sgprSrdB+3], 0, offen offset:0 // G -> Reg 0_0_3_0


/* global read inc A loopL */
s_add_u32 s58, s[sgprLoopCounterL], 1              // remove pf(1)
s_cmp_eq_u32 s[sgprStaggerUIter], s58              // Is this wrapIter? (pf)
s_cselect_b32 s56, s[sgprWrapUA+0], s[sgprGlobalReadIncsA+0] // incLower <- ?
s_cselect_b32 s57, s[sgprWrapUA+1], 0              // incUpper <- ?
s_add_u32 s[sgprSrdA+0], s[sgprSrdA+0], s56        // gra SRD += inc(lower)
s_addc_u32  s[sgprSrdA+1], s[sgprSrdA+1], s57      // gra SRD += inc(upper)
s_sub_u32 s[sgprShadowLimitA+0], s[sgprShadowLimitA+0], s56 // limit -= inc)
s_subb_u32 s[sgprShadowLimitA+1], s[sgprShadowLimitA+1], s57 // limit -= inc)
s_cmp_eq_u32 s[sgprShadowLimitA+1], 0              // are we within 2^32?
s_cselect_b32 s[sgprSrdA+2], s[sgprShadowLimitA+0], BufferLimitA // Move shadow to real if we are within 2^32

/* global read inc B loopL */
s_add_u32 s58, s[sgprLoopCounterL], 1              // remove pf(1)
s_cmp_eq_u32 s[sgprStaggerUIter], s58              // Is this wrapIter? (pf)
s_cselect_b32 s56, s[sgprWrapUB+0], s[sgprGlobalReadIncsB+0] // incLower <- ?
s_cselect_b32 s57, s[sgprWrapUB+1], 0              // incUpper <- ?
s_add_u32 s[sgprSrdB+0], s[sgprSrdB+0], s56        // gra SRD += inc(lower)
s_addc_u32  s[sgprSrdB+1], s[sgprSrdB+1], s57      // gra SRD += inc(upper)
s_sub_u32 s[sgprShadowLimitB+0], s[sgprShadowLimitB+0], s56 // limit -= inc)
s_subb_u32 s[sgprShadowLimitB+1], s[sgprShadowLimitB+1], s57 // limit -= inc)
s_cmp_eq_u32 s[sgprShadowLimitB+1], 0              // are we within 2^32?
s_cselect_b32 s[sgprSrdB+2], s[sgprShadowLimitB+0], BufferLimitB // Move shadow to real if we are within 2^32


/******************************************/
/* End setupNewTile, isPap=False             */
/******************************************/

ShadowInitStart_10: // 

s_mov_b32 s[sgprSrdD+2], BufferOOB                 // 
s_mov_b32 s[sgprSrdD+3], Srd127_96                 // Set bits 127_96 in post-loop SRD

s_mov_b32 s[sgprSrdC+2], BufferOOB                 // 
s_mov_b32 s[sgprSrdC+3], Srd127_96                 // Set bits 127_96 in post-loop SRD


s_mul_i32 s56, MT1, s[sgprWorkGroup1]              // <- wg1*MT1
s_mul_hi_u32 s55, s56, s[sgprStrideC1J]            // CScale s56 by Stride
s_mul_i32 s54, s56, s[sgprStrideC1J]               // CScale s56 by Stride
s_lshl_b64 s[54:55], s[54:55], 2                   // scale by bpe
s_add_u32 s[sgprSrdC+0], s[sgprSrdC+0], s54        // add lo to SRD
s_addc_u32 s[sgprSrdC+1], s[sgprSrdC+1], s55       // add hi to SRD
s_mul_hi_u32 s55, s56, s[sgprStrideD1J]            // Scale s56 by Stride
s_mul_i32 s54, s56, s[sgprStrideD1J]               // Scale s56 by Stride
s_lshl_b64 s[54:55], s[54:55], 2                   // scale by bpe
s_add_u32 s[sgprSrdD+0], s[sgprSrdD+0], s54        // add lo to SRD
s_addc_u32 s[sgprSrdD+1], s[sgprSrdD+1], s55       // add hi to SRD

s_mul_hi_u32 s55, s[sgprWorkGroup2], s[sgprStrideCK] // CScale s[sgprWorkGroup2] by Stride
s_mul_i32 s54, s[sgprWorkGroup2], s[sgprStrideCK]  // CScale s[sgprWorkGroup2] by Stride
s_lshl_b64 s[54:55], s[54:55], 2                   // scale by bpe
s_add_u32 s[sgprSrdC+0], s[sgprSrdC+0], s54        // add lo to SRD
s_addc_u32 s[sgprSrdC+1], s[sgprSrdC+1], s55       // add hi to SRD
s_mul_hi_u32 s55, s[sgprWorkGroup2], s[sgprStrideDK] // Scale s[sgprWorkGroup2] by Stride
s_mul_i32 s54, s[sgprWorkGroup2], s[sgprStrideDK]  // Scale s[sgprWorkGroup2] by Stride
s_lshl_b64 s[54:55], s[54:55], 2                   // scale by bpe
s_add_u32 s[sgprSrdD+0], s[sgprSrdD+0], s54        // add lo to SRD
s_addc_u32 s[sgprSrdD+1], s[sgprSrdD+1], s55       // add hi to SRD


	;; [unrolled: 1-line block ×3, first 2 shown]
/* initC: remove C-tile 0-0 from pool */

/* initC: remove AB-tile 0-72 from pool */
v_accvgpr_write acc0, 0x0                          // initC
v_accvgpr_write acc1, 0x0                          // initC
v_accvgpr_write acc2, 0x0                          // initC
v_accvgpr_write acc3, 0x0                          // initC
v_accvgpr_write acc4, 0x0                          // initC
v_accvgpr_write acc5, 0x0                          // initC
v_accvgpr_write acc6, 0x0                          // initC
v_accvgpr_write acc7, 0x0                          // initC
v_accvgpr_write acc8, 0x0                          // initC
v_accvgpr_write acc9, 0x0                          // initC
v_accvgpr_write acc10, 0x0                         // initC
v_accvgpr_write acc11, 0x0                         // initC
v_accvgpr_write acc12, 0x0                         // initC
v_accvgpr_write acc13, 0x0                         // initC
v_accvgpr_write acc14, 0x0                         // initC
v_accvgpr_write acc15, 0x0                         // initC
v_accvgpr_write acc16, 0x0                         // initC
v_accvgpr_write acc17, 0x0                         // initC
v_accvgpr_write acc18, 0x0                         // initC
v_accvgpr_write acc19, 0x0                         // initC
v_accvgpr_write acc20, 0x0                         // initC
v_accvgpr_write acc21, 0x0                         // initC
v_accvgpr_write acc22, 0x0                         // initC
v_accvgpr_write acc23, 0x0                         // initC
v_accvgpr_write acc24, 0x0                         // initC
v_accvgpr_write acc25, 0x0                         // initC
v_accvgpr_write acc26, 0x0                         // initC
v_accvgpr_write acc27, 0x0                         // initC
v_accvgpr_write acc28, 0x0                         // initC
v_accvgpr_write acc29, 0x0                         // initC
v_accvgpr_write acc30, 0x0                         // initC
v_accvgpr_write acc31, 0x0                         // initC
v_accvgpr_write acc32, 0x0                         // initC
v_accvgpr_write acc33, 0x0                         // initC
v_accvgpr_write acc34, 0x0                         // initC
v_accvgpr_write acc35, 0x0                         // initC
v_accvgpr_write acc36, 0x0                         // initC
v_accvgpr_write acc37, 0x0                         // initC
v_accvgpr_write acc38, 0x0                         // initC
v_accvgpr_write acc39, 0x0                         // initC
v_accvgpr_write acc40, 0x0                         // initC
v_accvgpr_write acc41, 0x0                         // initC
v_accvgpr_write acc42, 0x0                         // initC
v_accvgpr_write acc43, 0x0                         // initC
v_accvgpr_write acc44, 0x0                         // initC
v_accvgpr_write acc45, 0x0                         // initC
v_accvgpr_write acc46, 0x0                         // initC
v_accvgpr_write acc47, 0x0                         // initC
v_accvgpr_write acc48, 0x0                         // initC
v_accvgpr_write acc49, 0x0                         // initC
v_accvgpr_write acc50, 0x0                         // initC
v_accvgpr_write acc51, 0x0                         // initC
v_accvgpr_write acc52, 0x0                         // initC
v_accvgpr_write acc53, 0x0                         // initC
v_accvgpr_write acc54, 0x0                         // initC
v_accvgpr_write acc55, 0x0                         // initC
v_accvgpr_write acc56, 0x0                         // initC
v_accvgpr_write acc57, 0x0                         // initC
v_accvgpr_write acc58, 0x0                         // initC
v_accvgpr_write acc59, 0x0                         // initC
v_accvgpr_write acc60, 0x0                         // initC
v_accvgpr_write acc61, 0x0                         // initC
v_accvgpr_write acc62, 0x0                         // initC
v_accvgpr_write acc63, 0x0                         // initC
v_accvgpr_write acc64, 0x0                         // initC
v_accvgpr_write acc65, 0x0                         // initC
v_accvgpr_write acc66, 0x0                         // initC
v_accvgpr_write acc67, 0x0                         // initC
v_accvgpr_write acc68, 0x0                         // initC
v_accvgpr_write acc69, 0x0                         // initC
v_accvgpr_write acc70, 0x0                         // initC
v_accvgpr_write acc71, 0x0                         // initC
v_accvgpr_write acc72, 0x0                         // initC
v_accvgpr_write acc73, 0x0                         // initC
v_accvgpr_write acc74, 0x0                         // initC
v_accvgpr_write acc75, 0x0                         // initC
v_accvgpr_write acc76, 0x0                         // initC
v_accvgpr_write acc77, 0x0                         // initC
v_accvgpr_write acc78, 0x0                         // initC
v_accvgpr_write acc79, 0x0                         // initC
v_accvgpr_write acc80, 0x0                         // initC
v_accvgpr_write acc81, 0x0                         // initC
v_accvgpr_write acc82, 0x0                         // initC
v_accvgpr_write acc83, 0x0                         // initC
v_accvgpr_write acc84, 0x0                         // initC
v_accvgpr_write acc85, 0x0                         // initC
v_accvgpr_write acc86, 0x0                         // initC
v_accvgpr_write acc87, 0x0                         // initC
v_accvgpr_write acc88, 0x0                         // initC
v_accvgpr_write acc89, 0x0                         // initC
v_accvgpr_write acc90, 0x0                         // initC
v_accvgpr_write acc91, 0x0                         // initC
v_accvgpr_write acc92, 0x0                         // initC
v_accvgpr_write acc93, 0x0                         // initC
v_accvgpr_write acc94, 0x0                         // initC
v_accvgpr_write acc95, 0x0                         // initC
v_accvgpr_write acc96, 0x0                         // initC
v_accvgpr_write acc97, 0x0                         // initC
v_accvgpr_write acc98, 0x0                         // initC
v_accvgpr_write acc99, 0x0                         // initC
v_accvgpr_write acc100, 0x0                        // initC
v_accvgpr_write acc101, 0x0                        // initC
v_accvgpr_write acc102, 0x0                        // initC
v_accvgpr_write acc103, 0x0                        // initC
v_accvgpr_write acc104, 0x0                        // initC
v_accvgpr_write acc105, 0x0                        // initC
v_accvgpr_write acc106, 0x0                        // initC
v_accvgpr_write acc107, 0x0                        // initC
v_accvgpr_write acc108, 0x0                        // initC
v_accvgpr_write acc109, 0x0                        // initC
v_accvgpr_write acc110, 0x0                        // initC
v_accvgpr_write acc111, 0x0                        // initC
v_accvgpr_write acc112, 0x0                        // initC
v_accvgpr_write acc113, 0x0                        // initC
v_accvgpr_write acc114, 0x0                        // initC
v_accvgpr_write acc115, 0x0                        // initC
v_accvgpr_write acc116, 0x0                        // initC
v_accvgpr_write acc117, 0x0                        // initC
v_accvgpr_write acc118, 0x0                        // initC
v_accvgpr_write acc119, 0x0                        // initC
v_accvgpr_write acc120, 0x0                        // initC
v_accvgpr_write acc121, 0x0                        // initC
v_accvgpr_write acc122, 0x0                        // initC
v_accvgpr_write acc123, 0x0                        // initC
v_accvgpr_write acc124, 0x0                        // initC
v_accvgpr_write acc125, 0x0                        // initC
v_accvgpr_write acc126, 0x0                        // initC
v_accvgpr_write acc127, 0x0                        // initC

s_cmp_eq_u32 s[sgprLoopCounterL], 0                // at last iteration?

/* after InitC, skip to end of prefetch last iter if numIter==0 */
s_cbranch_scc0 label_NoBranch_11                   // Only branch on scc1
s_getpc_B64 s[54:55]                               // addr of next instr
s_add_i32 s56, PrefetchGlobalLastIterEnd_5, 0x4    // target branch offset
s_add_u32 s54, s54, s56                            // add target branch offset
s_addc_u32 s55, s55, 0                             // add high and carry
s_setpc_b64 s[54:55]                               // branch to PrefetchGlobalLastIterEnd_5
label_NoBranch_11:

s_waitcnt vmcnt(0)                                 // lgkmcnt=-1 vmcnt=0 8wait for global read


/* local write a */
_ds_store_b128 v[vgprLocalWriteAddrA], v[vgprG2LA+0:vgprG2LA+0+3] offset:0 // lwoA_0_0_0_0 = (0*LSCA) + (0*LSPA)(*MT0I+PAD) = 0
_ds_store_b128 v[vgprLocalWriteAddrA], v[vgprG2LA+4:vgprG2LA+4+3] offset:1088 // lwoA_0_0_1_0 = (0*LSCA) + (1*LSPA)(*MT0I+PAD) = 1088

/* local write b */
_ds_store_b128 v[vgprLocalWriteAddrB], v[vgprG2LB+0:vgprG2LB+0+3] offset:0 // lwoB_0_0_0_0 = (0*LSCB)*(MT1J+PAD) + (0*LSPB) = 0
_ds_store_b128 v[vgprLocalWriteAddrB], v[vgprG2LB+4:vgprG2LB+4+3] offset:1152 // lwoB_0_0_1_0 = (0*LSCB)*(MT1J+PAD) + (1*LSPB) = 1152
_ds_store_b128 v[vgprLocalWriteAddrB], v[vgprG2LB+8:vgprG2LB+8+3] offset:2304 // lwoB_0_0_2_0 = (0*LSCB)*(MT1J+PAD) + (2*LSPB) = 2304
_ds_store_b128 v[vgprLocalWriteAddrB], v[vgprG2LB+12:vgprG2LB+12+3] offset:3456 // lwoB_0_0_3_0 = (0*LSCB)*(MT1J+PAD) + (3*LSPB) = 3456


/* local write swap a */


	;; [unrolled: 1-line block ×3, first 2 shown]
/* local write swap b */


	;; [unrolled: 1-line block ×4, first 2 shown]
s_waitcnt lgkmcnt(0)                               // lgkmcnt=0 vmcnt=-10prefetch wait for local write

s_waitcnt lgkmcnt(0) & vmcnt(0)                    // force waitcnt0
s_barrier //


/* local read prefetch a */

_ds_load_u8 v[vgprValuA_X0_I0+0], v[vgprLocalReadAddrA] offset:0 // L -> Reg lro=0 swapByteOffset=0 ti=128 vIdx=0 rIdx=0 oIdx=0 buffer=0 iui=0
_ds_load_u8 v107, v[vgprLocalReadAddrA] offset:136 // L -> Reg lro=0 swapByteOffset=0 ti=128 vIdx=0 rIdx=1 oIdx=0 buffer=0 iui=0
_ds_load_u8_d16_hi v108, v[vgprLocalReadAddrA] offset:272 // L -> Reg lro=0 swapByteOffset=0 ti=128 vIdx=0 rIdx=2 oIdx=0 buffer=0 iui=0
_ds_load_u8_d16_hi v109, v[vgprLocalReadAddrA] offset:408 // L -> Reg lro=0 swapByteOffset=0 ti=128 vIdx=0 rIdx=3 oIdx=0 buffer=0 iui=0


/* local read prefetch b */

_ds_load_b128 v[vgprValuB_X0_I0+0:vgprValuB_X0_I0+0+3], v[vgprLocalReadAddrB] offset:0 // L -> Reg lro=0 swapByteOffset=0 ti=32 vIdx=0 rIdx=0 oIdx=0 buffer=0 iui=0
_ds_load_b128 v[vgprValuB_X0_I0+4:vgprValuB_X0_I0+4+3], v[vgprLocalReadAddrB] offset:2304 // L -> Reg lro=0 swapByteOffset=0 ti=32 vIdx=1 rIdx=0 oIdx=0 buffer=0 iui=0
	;; [unrolled: 1-line block ×8, first 2 shown]


/* local read inc a */

/* N/A, lro->544 */
/* self.localReadDoCntA 1 self.localReadDoCntB 1 */


/* local read inc b */

/* N/A, lro->32 */
/* self.localReadDoCntA 1 self.localReadDoCntB 1 */



/******************************************/
/* Unrolled Loop(s) - Begin               */
/******************************************/

openLoopL_12:
s_cmp_le_u32 s[sgprLoopCounterL], 0x1              // LoopCounterL < EndCounter
s_cbranch_scc1 LoopEndL_2                          // do not enter LoopL
LoopBeginL_1:


/******************************************/
/* Unrolled Loop 1/2 - Begin              */
/******************************************/

label_0013: // LoopCopy1 


/* Begin Each Unroll: Check VGPR.checkin for INT8 LW */


	;; [unrolled: 1-line block ×3, first 2 shown]
/* iter 0 */

/*  grEndMfmaIndex:5, lwStartMfmaIndex:51, lwEndMfmaIndex:56  */
/*  numMfmaForLR:5, barrierMfmaIndex:58 */
/*  mfmaIndex:0  */
_buffer_load_b128 v[vgprG2LA+0:vgprG2LA+0+3], v[vgprGlobalReadOffsetA+0], s[sgprSrdA:sgprSrdA+3], 0, offen offset:0 // G -> Reg 0_0_0_0
s_waitcnt lgkmcnt(0)                               // lgkmcnt=0 vmcnt=-1wait for prior local read local write old=0, new=0 newLW=0 newLR=0
/* pack scheduling: packAIdx:3, packBIdx:0 */
_v_lshl_or_b32 v[vgprValuA_X0_I0+0], v107, 0x8, v[vgprValuA_X0_I0+0] // pack two int8 Vgpr to one half Vgpr
_v_lshl_or_b32 v108, v109, 0x8, v108               // pack two int8 Vgpr to one half Vgpr
v_or_b32 v[vgprValuA_X0_I0+0], v[vgprValuA_X0_I0+0], v108 // pack two half Vgpr to one Vgpr
s_nop  1                                           // VALU packing writes to be consumed by matrix instruction
v_mfma_i32_32x32x8i8 a[0+0:15+0], v[vgprValuA_X0_I0+0+0+0], v[vgprValuB_X0_I0+0+0+0], a[0:15]
/*  mfmaIndex:1  */
_ds_load_u8 v[vgprValuA_X1_I0+0], v[vgprLocalReadAddrA] offset:544 // L -> Reg lro=544 swapByteOffset=0 ti=128 vIdx=0 rIdx=0 oIdx=0 buffer=1 iui=0
_ds_load_u8 v110, v[vgprLocalReadAddrA] offset:680 // L -> Reg lro=544 swapByteOffset=0 ti=128 vIdx=0 rIdx=1 oIdx=0 buffer=1 iui=0
_ds_load_u8_d16_hi v111, v[vgprLocalReadAddrA] offset:816 // L -> Reg lro=544 swapByteOffset=0 ti=128 vIdx=0 rIdx=2 oIdx=0 buffer=1 iui=0
_ds_load_u8_d16_hi v112, v[vgprLocalReadAddrA] offset:952 // L -> Reg lro=544 swapByteOffset=0 ti=128 vIdx=0 rIdx=3 oIdx=0 buffer=1 iui=0
_ds_load_b128 v[vgprValuB_X4_I0+0:vgprValuB_X4_I0+0+3], v[vgprLocalReadAddrB] offset:32 // L -> Reg lro=32 swapByteOffset=0 ti=32 vIdx=0 rIdx=0 oIdx=0 buffer=4 iui=0
_buffer_load_b128 v[vgprG2LA+4:vgprG2LA+4+3], v[vgprGlobalReadOffsetA+1], s[sgprSrdA:sgprSrdA+3], 0, offen offset:0 // G -> Reg 0_0_1_0
v_mfma_i32_32x32x8i8 a[16+0:31+0], v[vgprValuA_X0_I0+0+0+0], v[vgprValuB_X0_I0+4+0+0], a[16:31]
/*  mfmaIndex:2  */
_ds_load_b128 v[vgprValuB_X4_I0+4:vgprValuB_X4_I0+4+3], v[vgprLocalReadAddrB] offset:2336 // L -> Reg lro=32 swapByteOffset=0 ti=32 vIdx=1 rIdx=0 oIdx=0 buffer=4 iui=0
_ds_load_b128 v[vgprValuB_X4_I0+8:vgprValuB_X4_I0+8+3], v[vgprLocalReadAddrB] offset:4640 // L -> Reg lro=32 swapByteOffset=0 ti=32 vIdx=2 rIdx=0 oIdx=0 buffer=4 iui=0
	;; [unrolled: 1-line block ×3, first 2 shown]
_buffer_load_b128 v[vgprG2LB+0:vgprG2LB+0+3], v[vgprGlobalReadOffsetB+0], s[sgprSrdB:sgprSrdB+3], 0, offen offset:0 // G -> Reg 0_0_0_0
v_mfma_i32_32x32x8i8 a[32+0:47+0], v[vgprValuA_X0_I0+0+0+0], v[vgprValuB_X0_I0+8+0+0], a[32:47]
/*  mfmaIndex:3  */
_ds_load_b128 v[vgprValuB_X4_I0+16:vgprValuB_X4_I0+16+3], v[vgprLocalReadAddrB] offset:9248 // L -> Reg lro=32 swapByteOffset=0 ti=32 vIdx=4 rIdx=0 oIdx=0 buffer=4 iui=0
_ds_load_b128 v[vgprValuB_X4_I0+20:vgprValuB_X4_I0+20+3], v[vgprLocalReadAddrB] offset:11552 // L -> Reg lro=32 swapByteOffset=0 ti=32 vIdx=5 rIdx=0 oIdx=0 buffer=4 iui=0
	;; [unrolled: 1-line block ×3, first 2 shown]
_buffer_load_b128 v[vgprG2LB+4:vgprG2LB+4+3], v[vgprGlobalReadOffsetB+1], s[sgprSrdB:sgprSrdB+3], 0, offen offset:0 // G -> Reg 0_0_1_0
v_mfma_i32_32x32x8i8 a[48+0:63+0], v[vgprValuA_X0_I0+0+0+0], v[vgprValuB_X0_I0+12+0+0], a[48:63]
/*  mfmaIndex:4  */
_ds_load_b128 v[vgprValuB_X4_I0+28:vgprValuB_X4_I0+28+3], v[vgprLocalReadAddrB] offset:16160 // L -> Reg lro=32 swapByteOffset=0 ti=32 vIdx=7 rIdx=0 oIdx=0 buffer=4 iui=0
/* localReadsVacancy: latencyLeft 9 */
_ds_load_u8 v[vgprValuA_X2_I0+0], v[vgprLocalReadAddrA] offset:1088 // L -> Reg lro=1088 swapByteOffset=0 ti=128 vIdx=0 rIdx=0 oIdx=0 buffer=2 iui=0
_ds_load_u8 v[vgprValuA_X3_I0+0], v[vgprLocalReadAddrA] offset:1632 // L -> Reg lro=1632 swapByteOffset=0 ti=128 vIdx=0 rIdx=0 oIdx=0 buffer=3 iui=0
_ds_load_u8 v[vgprValuA_X4_I0+0], v[vgprLocalReadAddrA] offset:4352 // L -> Reg lro=4352 swapByteOffset=0 ti=128 vIdx=0 rIdx=0 oIdx=0 buffer=4 iui=0
_ds_load_u8 v[vgprValuA_X5_I0+0], v[vgprLocalReadAddrA] offset:4896 // L -> Reg lro=4896 swapByteOffset=0 ti=128 vIdx=0 rIdx=0 oIdx=0 buffer=5 iui=0
_buffer_load_b128 v[vgprG2LB+8:vgprG2LB+8+3], v[vgprGlobalReadOffsetB+2], s[sgprSrdB:sgprSrdB+3], 0, offen offset:0 // G -> Reg 0_0_2_0
v_mfma_i32_32x32x8i8 a[64+0:79+0], v[vgprValuA_X0_I0+0+0+0], v[vgprValuB_X0_I0+16+0+0], a[64:79]
/*  mfmaIndex:5  */
/* localReadsVacancy: latencyLeft 13 */
_ds_load_u8 v[vgprValuA_X6_I0+0], v[vgprLocalReadAddrA] offset:5440 // L -> Reg lro=5440 swapByteOffset=0 ti=128 vIdx=0 rIdx=0 oIdx=0 buffer=6 iui=0
_ds_load_u8 v[vgprValuA_X7_I0+0], v[vgprLocalReadAddrA] offset:5984 // L -> Reg lro=5984 swapByteOffset=0 ti=128 vIdx=0 rIdx=0 oIdx=0 buffer=7 iui=0
_buffer_load_b128 v[vgprG2LB+12:vgprG2LB+12+3], v[vgprGlobalReadOffsetB+3], s[sgprSrdB:sgprSrdB+3], 0, offen offset:0 // G -> Reg 0_0_3_0
v_mfma_i32_32x32x8i8 a[80+0:95+0], v[vgprValuA_X0_I0+0+0+0], v[vgprValuB_X0_I0+20+0+0], a[80:95]
/*  mfmaIndex:6  */
/* localReadsVacancy: latencyLeft 13 */

/* global read inc A loopL */
s_cmp_eq_u32 s[sgprLoopCounterL], s[sgprStaggerUIter] // Is this the wrapIter?
s_cselect_b32 s54, s[sgprWrapUA+0], s[sgprGlobalReadIncsA+0] // incLower <- ?
s_cselect_b32 s55, s[sgprWrapUA+1], 0              // incUpper <- ?
s_add_u32 s[sgprSrdA+0], s[sgprSrdA+0], s54        // gra SRD += inc(lower)
s_addc_u32  s[sgprSrdA+1], s[sgprSrdA+1], s55      // gra SRD += inc(upper)
s_sub_u32 s[sgprShadowLimitA+0], s[sgprShadowLimitA+0], s54 // limit -= inc)
s_subb_u32 s[sgprShadowLimitA+1], s[sgprShadowLimitA+1], s55 // limit -= inc)
v_mfma_i32_32x32x8i8 a[96+0:111+0], v[vgprValuA_X0_I0+0+0+0], v[vgprValuB_X0_I0+24+0+0], a[96:111]
/*  mfmaIndex:7  */
/* localReadsVacancy: latencyLeft 13 */
s_cmp_eq_u32 s[sgprShadowLimitA+1], 0              // are we within 2^32?
s_cselect_b32 s[sgprSrdA+2], s[sgprShadowLimitA+0], BufferLimitA // Move shadow to real if we are within 2^32

/* global read inc B loopL */
s_cmp_eq_u32 s[sgprLoopCounterL], s[sgprStaggerUIter] // Is this the wrapIter?
s_cselect_b32 s54, s[sgprWrapUB+0], s[sgprGlobalReadIncsB+0] // incLower <- ?
s_cselect_b32 s55, s[sgprWrapUB+1], 0              // incUpper <- ?
s_add_u32 s[sgprSrdB+0], s[sgprSrdB+0], s54        // gra SRD += inc(lower)
s_addc_u32  s[sgprSrdB+1], s[sgprSrdB+1], s55      // gra SRD += inc(upper)
v_mfma_i32_32x32x8i8 a[112+0:127+0], v[vgprValuA_X0_I0+0+0+0], v[vgprValuB_X0_I0+28+0+0], a[112:127]
/* numPrefetchIter=0 */
/* dataAtIterA=-1 numReadsIterA=1 skipReadsIterA=1 readsPerIterA=4 */
/* dataAtIterB=-1 numReadsIterB=1 skipReadsIterB=1 readsPerIterB=8 */


/* iter 1 */

/*  grEndMfmaIndex:5, lwStartMfmaIndex:51, lwEndMfmaIndex:56  */
/*  numMfmaForLR:5, barrierMfmaIndex:58 */
/*  mfmaIndex:8  */
_ds_load_u8 v107, v[vgprLocalReadAddrA] offset:1224 // L -> Reg lro=1088 swapByteOffset=0 ti=128 vIdx=0 rIdx=1 oIdx=0 buffer=2 iui=0
_ds_load_u8_d16_hi v108, v[vgprLocalReadAddrA] offset:1360 // L -> Reg lro=1088 swapByteOffset=0 ti=128 vIdx=0 rIdx=2 oIdx=0 buffer=2 iui=0
_ds_load_u8_d16_hi v109, v[vgprLocalReadAddrA] offset:1496 // L -> Reg lro=1088 swapByteOffset=0 ti=128 vIdx=0 rIdx=3 oIdx=0 buffer=2 iui=0
/* localReadsVacancy: latencyLeft 7 */
s_sub_u32 s[sgprShadowLimitB+0], s[sgprShadowLimitB+0], s54 // limit -= inc)
s_subb_u32 s[sgprShadowLimitB+1], s[sgprShadowLimitB+1], s55 // limit -= inc)
s_cmp_eq_u32 s[sgprShadowLimitB+1], 0              // are we within 2^32?
s_cselect_b32 s[sgprSrdB+2], s[sgprShadowLimitB+0], BufferLimitB // Move shadow to real if we are within 2^32
s_waitcnt lgkmcnt(9)                               // lgkmcnt=0 vmcnt=-1wait for prior local read local write old=1, new=4 newLW=0 newLR=3
/* pack scheduling: packAIdx:3, packBIdx:0 */
_v_lshl_or_b32 v[vgprValuA_X1_I0+0], v110, 0x8, v[vgprValuA_X1_I0+0] // pack two int8 Vgpr to one half Vgpr
_v_lshl_or_b32 v111, v112, 0x8, v111               // pack two int8 Vgpr to one half Vgpr
v_or_b32 v[vgprValuA_X1_I0+0], v[vgprValuA_X1_I0+0], v111 // pack two half Vgpr to one Vgpr
s_nop  1                                           // VALU packing writes to be consumed by matrix instruction
v_mfma_i32_32x32x8i8 a[0+0:15+0], v[vgprValuA_X1_I0+0+0+0], v[vgprValuB_X0_I0+0+1+0], a[0:15]
/*  mfmaIndex:9  */
/* localReadsVacancy: latencyLeft 13 */
v_mfma_i32_32x32x8i8 a[16+0:31+0], v[vgprValuA_X1_I0+0+0+0], v[vgprValuB_X0_I0+4+1+0], a[16:31]
/*  mfmaIndex:10  */
/* localReadsVacancy: latencyLeft 13 */
	;; [unrolled: 3-line block ×7, first 2 shown]
v_mfma_i32_32x32x8i8 a[112+0:127+0], v[vgprValuA_X1_I0+0+0+0], v[vgprValuB_X0_I0+28+1+0], a[112:127]
/* numPrefetchIter=0 */
/* dataAtIterA=0 numReadsIterA=2 skipReadsIterA=1 readsPerIterA=4 */
/* dataAtIterB=-1 numReadsIterB=1 skipReadsIterB=0 readsPerIterB=8 */


/* iter 2 */

/*  grEndMfmaIndex:5, lwStartMfmaIndex:51, lwEndMfmaIndex:56  */
/*  numMfmaForLR:5, barrierMfmaIndex:58 */
/*  mfmaIndex:16  */
_ds_load_u8 v110, v[vgprLocalReadAddrA] offset:1768 // L -> Reg lro=1632 swapByteOffset=0 ti=128 vIdx=0 rIdx=1 oIdx=0 buffer=3 iui=0
_ds_load_u8_d16_hi v111, v[vgprLocalReadAddrA] offset:1904 // L -> Reg lro=1632 swapByteOffset=0 ti=128 vIdx=0 rIdx=2 oIdx=0 buffer=3 iui=0
_ds_load_u8_d16_hi v112, v[vgprLocalReadAddrA] offset:2040 // L -> Reg lro=1632 swapByteOffset=0 ti=128 vIdx=0 rIdx=3 oIdx=0 buffer=3 iui=0
/* localReadsVacancy: latencyLeft 7 */
s_waitcnt lgkmcnt(3)                               // lgkmcnt=0 vmcnt=-1wait for prior local read local write old=0, new=3 newLW=0 newLR=3
/* pack scheduling: packAIdx:3, packBIdx:0 */
_v_lshl_or_b32 v[vgprValuA_X2_I0+0], v107, 0x8, v[vgprValuA_X2_I0+0] // pack two int8 Vgpr to one half Vgpr
_v_lshl_or_b32 v108, v109, 0x8, v108               // pack two int8 Vgpr to one half Vgpr
v_or_b32 v[vgprValuA_X2_I0+0], v[vgprValuA_X2_I0+0], v108 // pack two half Vgpr to one Vgpr
s_nop  1                                           // VALU packing writes to be consumed by matrix instruction
v_mfma_i32_32x32x8i8 a[0+0:15+0], v[vgprValuA_X2_I0+0+0+0], v[vgprValuB_X0_I0+0+2+0], a[0:15]
/*  mfmaIndex:17  */
/* localReadsVacancy: latencyLeft 13 */
v_mfma_i32_32x32x8i8 a[16+0:31+0], v[vgprValuA_X2_I0+0+0+0], v[vgprValuB_X0_I0+4+2+0], a[16:31]
/*  mfmaIndex:18  */
/* localReadsVacancy: latencyLeft 13 */
	;; [unrolled: 3-line block ×7, first 2 shown]
v_mfma_i32_32x32x8i8 a[112+0:127+0], v[vgprValuA_X2_I0+0+0+0], v[vgprValuB_X0_I0+28+2+0], a[112:127]
/* numPrefetchIter=0 */
/* dataAtIterA=1 numReadsIterA=3 skipReadsIterA=1 readsPerIterA=4 */
/* dataAtIterB=-1 numReadsIterB=1 skipReadsIterB=0 readsPerIterB=8 */


/* iter 3 */

/*  grEndMfmaIndex:5, lwStartMfmaIndex:51, lwEndMfmaIndex:56  */
/*  numMfmaForLR:5, barrierMfmaIndex:58 */
/*  mfmaIndex:24  */
_ds_load_u8 v107, v[vgprLocalReadAddrA] offset:4488 // L -> Reg lro=4352 swapByteOffset=0 ti=128 vIdx=0 rIdx=1 oIdx=0 buffer=4 iui=0
_ds_load_u8_d16_hi v108, v[vgprLocalReadAddrA] offset:4624 // L -> Reg lro=4352 swapByteOffset=0 ti=128 vIdx=0 rIdx=2 oIdx=0 buffer=4 iui=0
_ds_load_u8_d16_hi v109, v[vgprLocalReadAddrA] offset:4760 // L -> Reg lro=4352 swapByteOffset=0 ti=128 vIdx=0 rIdx=3 oIdx=0 buffer=4 iui=0
/* localReadsVacancy: latencyLeft 7 */
s_waitcnt lgkmcnt(3)                               // lgkmcnt=0 vmcnt=-1wait for prior local read local write old=0, new=3 newLW=0 newLR=3
/* pack scheduling: packAIdx:3, packBIdx:0 */
_v_lshl_or_b32 v[vgprValuA_X3_I0+0], v110, 0x8, v[vgprValuA_X3_I0+0] // pack two int8 Vgpr to one half Vgpr
_v_lshl_or_b32 v111, v112, 0x8, v111               // pack two int8 Vgpr to one half Vgpr
v_or_b32 v[vgprValuA_X3_I0+0], v[vgprValuA_X3_I0+0], v111 // pack two half Vgpr to one Vgpr
s_nop  1                                           // VALU packing writes to be consumed by matrix instruction
v_mfma_i32_32x32x8i8 a[0+0:15+0], v[vgprValuA_X3_I0+0+0+0], v[vgprValuB_X0_I0+0+3+0], a[0:15]
/*  mfmaIndex:25  */
/* localReadsVacancy: latencyLeft 13 */
v_mfma_i32_32x32x8i8 a[16+0:31+0], v[vgprValuA_X3_I0+0+0+0], v[vgprValuB_X0_I0+4+3+0], a[16:31]
/*  mfmaIndex:26  */
/* localReadsVacancy: latencyLeft 13 */
	;; [unrolled: 3-line block ×7, first 2 shown]
v_mfma_i32_32x32x8i8 a[112+0:127+0], v[vgprValuA_X3_I0+0+0+0], v[vgprValuB_X0_I0+28+3+0], a[112:127]
/* numPrefetchIter=0 */
/* dataAtIterA=2 numReadsIterA=4 skipReadsIterA=1 readsPerIterA=4 */
/* dataAtIterB=-1 numReadsIterB=1 skipReadsIterB=0 readsPerIterB=8 */


/* iter 4 */

/*  grEndMfmaIndex:5, lwStartMfmaIndex:51, lwEndMfmaIndex:56  */
/*  numMfmaForLR:5, barrierMfmaIndex:58 */
/*  mfmaIndex:32  */
_ds_load_u8 v110, v[vgprLocalReadAddrA] offset:5032 // L -> Reg lro=4896 swapByteOffset=0 ti=128 vIdx=0 rIdx=1 oIdx=0 buffer=5 iui=0
_ds_load_u8_d16_hi v111, v[vgprLocalReadAddrA] offset:5168 // L -> Reg lro=4896 swapByteOffset=0 ti=128 vIdx=0 rIdx=2 oIdx=0 buffer=5 iui=0
_ds_load_u8_d16_hi v112, v[vgprLocalReadAddrA] offset:5304 // L -> Reg lro=4896 swapByteOffset=0 ti=128 vIdx=0 rIdx=3 oIdx=0 buffer=5 iui=0
/* localReadsVacancy: latencyLeft 7 */
s_waitcnt lgkmcnt(3)                               // lgkmcnt=0 vmcnt=-1wait for prior local read local write old=0, new=3 newLW=0 newLR=3
/* pack scheduling: packAIdx:3, packBIdx:0 */
_v_lshl_or_b32 v[vgprValuA_X4_I0+0], v107, 0x8, v[vgprValuA_X4_I0+0] // pack two int8 Vgpr to one half Vgpr
_v_lshl_or_b32 v108, v109, 0x8, v108               // pack two int8 Vgpr to one half Vgpr
v_or_b32 v[vgprValuA_X4_I0+0], v[vgprValuA_X4_I0+0], v108 // pack two half Vgpr to one Vgpr
s_nop  1                                           // VALU packing writes to be consumed by matrix instruction
v_mfma_i32_32x32x8i8 a[0+0:15+0], v[vgprValuA_X4_I0+0+0+0], v[vgprValuB_X4_I0+0+0+0], a[0:15]
/*  mfmaIndex:33  */
/* localReadsVacancy: latencyLeft 13 */
v_mfma_i32_32x32x8i8 a[16+0:31+0], v[vgprValuA_X4_I0+0+0+0], v[vgprValuB_X4_I0+4+0+0], a[16:31]
/*  mfmaIndex:34  */
/* localReadsVacancy: latencyLeft 13 */
	;; [unrolled: 3-line block ×7, first 2 shown]
v_mfma_i32_32x32x8i8 a[112+0:127+0], v[vgprValuA_X4_I0+0+0+0], v[vgprValuB_X4_I0+28+0+0], a[112:127]
/* numPrefetchIter=0 */
/* dataAtIterA=3 numReadsIterA=5 skipReadsIterA=1 readsPerIterA=4 */
/* dataAtIterB=0 numReadsIterB=1 skipReadsIterB=0 readsPerIterB=8 */


/* iter 5 */

/*  grEndMfmaIndex:5, lwStartMfmaIndex:51, lwEndMfmaIndex:56  */
/*  numMfmaForLR:5, barrierMfmaIndex:58 */
/*  mfmaIndex:40  */
_ds_load_u8 v107, v[vgprLocalReadAddrA] offset:5576 // L -> Reg lro=5440 swapByteOffset=0 ti=128 vIdx=0 rIdx=1 oIdx=0 buffer=6 iui=0
_ds_load_u8_d16_hi v108, v[vgprLocalReadAddrA] offset:5712 // L -> Reg lro=5440 swapByteOffset=0 ti=128 vIdx=0 rIdx=2 oIdx=0 buffer=6 iui=0
_ds_load_u8_d16_hi v109, v[vgprLocalReadAddrA] offset:5848 // L -> Reg lro=5440 swapByteOffset=0 ti=128 vIdx=0 rIdx=3 oIdx=0 buffer=6 iui=0
/* localReadsVacancy: latencyLeft 7 */
s_waitcnt lgkmcnt(3)                               // lgkmcnt=0 vmcnt=-1wait for prior local read local write old=0, new=3 newLW=0 newLR=3
/* pack scheduling: packAIdx:3, packBIdx:0 */
_v_lshl_or_b32 v[vgprValuA_X5_I0+0], v110, 0x8, v[vgprValuA_X5_I0+0] // pack two int8 Vgpr to one half Vgpr
_v_lshl_or_b32 v111, v112, 0x8, v111               // pack two int8 Vgpr to one half Vgpr
v_or_b32 v[vgprValuA_X5_I0+0], v[vgprValuA_X5_I0+0], v111 // pack two half Vgpr to one Vgpr
s_nop  1                                           // VALU packing writes to be consumed by matrix instruction
v_mfma_i32_32x32x8i8 a[0+0:15+0], v[vgprValuA_X5_I0+0+0+0], v[vgprValuB_X4_I0+0+1+0], a[0:15]
/*  mfmaIndex:41  */
/* localReadsVacancy: latencyLeft 13 */
v_mfma_i32_32x32x8i8 a[16+0:31+0], v[vgprValuA_X5_I0+0+0+0], v[vgprValuB_X4_I0+4+1+0], a[16:31]
/*  mfmaIndex:42  */
/* localReadsVacancy: latencyLeft 13 */
	;; [unrolled: 3-line block ×7, first 2 shown]
v_mfma_i32_32x32x8i8 a[112+0:127+0], v[vgprValuA_X5_I0+0+0+0], v[vgprValuB_X4_I0+28+1+0], a[112:127]
/* numPrefetchIter=0 */
/* dataAtIterA=4 numReadsIterA=6 skipReadsIterA=1 readsPerIterA=4 */
/* dataAtIterB=0 numReadsIterB=1 skipReadsIterB=0 readsPerIterB=8 */


/* iter 6 (reset local read pointers iteration)  (swap local read pointers iteration)  */

/*  grEndMfmaIndex:5, lwStartMfmaIndex:51, lwEndMfmaIndex:56  */
/*  numMfmaForLR:5, barrierMfmaIndex:58 */
/*  mfmaIndex:48  */
_ds_load_u8 v110, v[vgprLocalReadAddrA] offset:6120 // L -> Reg lro=5984 swapByteOffset=0 ti=128 vIdx=0 rIdx=1 oIdx=0 buffer=7 iui=0
_ds_load_u8_d16_hi v111, v[vgprLocalReadAddrA] offset:6256 // L -> Reg lro=5984 swapByteOffset=0 ti=128 vIdx=0 rIdx=2 oIdx=0 buffer=7 iui=0
_ds_load_u8_d16_hi v112, v[vgprLocalReadAddrA] offset:6392 // L -> Reg lro=5984 swapByteOffset=0 ti=128 vIdx=0 rIdx=3 oIdx=0 buffer=7 iui=0
/* localReadsVacancy: latencyLeft 7 */
s_waitcnt lgkmcnt(3)                               // lgkmcnt=0 vmcnt=-1wait for prior local read local write old=0, new=3 newLW=0 newLR=3
/* pack scheduling: packAIdx:3, packBIdx:0 */
_v_lshl_or_b32 v[vgprValuA_X6_I0+0], v107, 0x8, v[vgprValuA_X6_I0+0] // pack two int8 Vgpr to one half Vgpr
_v_lshl_or_b32 v108, v109, 0x8, v108               // pack two int8 Vgpr to one half Vgpr
v_or_b32 v[vgprValuA_X6_I0+0], v[vgprValuA_X6_I0+0], v108 // pack two half Vgpr to one Vgpr
s_nop  1                                           // VALU packing writes to be consumed by matrix instruction
v_mfma_i32_32x32x8i8 a[0+0:15+0], v[vgprValuA_X6_I0+0+0+0], v[vgprValuB_X4_I0+0+2+0], a[0:15]
/*  mfmaIndex:49  */
/* localReadsVacancy: latencyLeft 13 */
v_mfma_i32_32x32x8i8 a[16+0:31+0], v[vgprValuA_X6_I0+0+0+0], v[vgprValuB_X4_I0+4+2+0], a[16:31]
/*  mfmaIndex:50  */
/* localReadsVacancy: latencyLeft 13 */
/* 1 LDS buffer: read-sync-write */
s_waitcnt lgkmcnt(0)                               // 
s_barrier                                          // 
v_mfma_i32_32x32x8i8 a[32+0:47+0], v[vgprValuA_X6_I0+0+0+0], v[vgprValuB_X4_I0+8+2+0], a[32:47]
/*  mfmaIndex:51  */
/* localReadsVacancy: latencyLeft 3 */
/* sched write - iter 6 writesPerItem=1 */
s_waitcnt vmcnt(0)                                 // lgkmcnt=-1 vmcnt=0wait for global read before writing to local
_ds_store_b128 v[vgprLocalWriteAddrA], v[vgprG2LA+0:vgprG2LA+0+3] offset:0 // lwoA_0_0_0_0 = (0*LSCA) + (0*LSPA)(*MT0I+PAD) = 0
v_mfma_i32_32x32x8i8 a[48+0:63+0], v[vgprValuA_X6_I0+0+0+0], v[vgprValuB_X4_I0+12+2+0], a[48:63]
/*  mfmaIndex:52  */
/* sched write - iter 6 writesPerItem=1 */
s_waitcnt vmcnt(0)                                 // lgkmcnt=-1 vmcnt=0wait for global read before writing to local
_ds_store_b128 v[vgprLocalWriteAddrA], v[vgprG2LA+4:vgprG2LA+4+3] offset:1088 // lwoA_0_0_1_0 = (0*LSCA) + (1*LSPA)(*MT0I+PAD) = 1088
v_mfma_i32_32x32x8i8 a[64+0:79+0], v[vgprValuA_X6_I0+0+0+0], v[vgprValuB_X4_I0+16+2+0], a[64:79]
/*  mfmaIndex:53  */
/* sched write - iter 6 writesPerItem=1 */
s_waitcnt vmcnt(0)                                 // lgkmcnt=-1 vmcnt=0wait for global read before writing to local
_ds_store_b128 v[vgprLocalWriteAddrB], v[vgprG2LB+0:vgprG2LB+0+3] offset:0 // lwoB_0_0_0_0 = (0*LSCB)*(MT1J+PAD) + (0*LSPB) = 0
v_mfma_i32_32x32x8i8 a[80+0:95+0], v[vgprValuA_X6_I0+0+0+0], v[vgprValuB_X4_I0+20+2+0], a[80:95]
/*  mfmaIndex:54  */
/* sched write - iter 6 writesPerItem=1 */
s_waitcnt vmcnt(0)                                 // lgkmcnt=-1 vmcnt=0wait for global read before writing to local
_ds_store_b128 v[vgprLocalWriteAddrB], v[vgprG2LB+4:vgprG2LB+4+3] offset:1152 // lwoB_0_0_1_0 = (0*LSCB)*(MT1J+PAD) + (1*LSPB) = 1152
v_mfma_i32_32x32x8i8 a[96+0:111+0], v[vgprValuA_X6_I0+0+0+0], v[vgprValuB_X4_I0+24+2+0], a[96:111]
/*  mfmaIndex:55  */
/* sched write - iter 6 writesPerItem=1 */
s_waitcnt vmcnt(0)                                 // lgkmcnt=-1 vmcnt=0wait for global read before writing to local
_ds_store_b128 v[vgprLocalWriteAddrB], v[vgprG2LB+8:vgprG2LB+8+3] offset:2304 // lwoB_0_0_2_0 = (0*LSCB)*(MT1J+PAD) + (2*LSPB) = 2304

/* local read swap offsets a */

/* local read swap offsets b */

/* local read init pointers a */

/* localReadInitPointers */

/* local read init pointers b */

/* localReadInitPointers */
v_mfma_i32_32x32x8i8 a[112+0:127+0], v[vgprValuA_X6_I0+0+0+0], v[vgprValuB_X4_I0+28+2+0], a[112:127]
/* numPrefetchIter=0 */
/* dataAtIterA=5 numReadsIterA=7 skipReadsIterA=1 readsPerIterA=4 */
/* dataAtIterB=0 numReadsIterB=1 skipReadsIterB=0 readsPerIterB=8 */


/* iter 7 (swap and reset local write pointers iteration)  */

/*  grEndMfmaIndex:5, lwStartMfmaIndex:51, lwEndMfmaIndex:56  */
/*  numMfmaForLR:5, barrierMfmaIndex:58 */
/*  mfmaIndex:56  */
/* sched write - iter 7 writesPerItem=1 */
s_waitcnt vmcnt(0)                                 // lgkmcnt=-1 vmcnt=0wait for global read before writing to local
_ds_store_b128 v[vgprLocalWriteAddrB], v[vgprG2LB+12:vgprG2LB+12+3] offset:3456 // lwoB_0_0_3_0 = (0*LSCB)*(MT1J+PAD) + (3*LSPB) = 3456

/* local write swap offsets a */

/* local write swap offsets b */
/* pack scheduling: packAIdx:3, packBIdx:0 */
_v_lshl_or_b32 v[vgprValuA_X7_I0+0], v110, 0x8, v[vgprValuA_X7_I0+0] // pack two int8 Vgpr to one half Vgpr
_v_lshl_or_b32 v111, v112, 0x8, v111               // pack two int8 Vgpr to one half Vgpr
v_or_b32 v[vgprValuA_X7_I0+0], v[vgprValuA_X7_I0+0], v111 // pack two half Vgpr to one Vgpr
s_nop  1                                           // VALU packing writes to be consumed by matrix instruction
v_mfma_i32_32x32x8i8 a[0+0:15+0], v[vgprValuA_X7_I0+0+0+0], v[vgprValuB_X4_I0+0+3+0], a[0:15]
/*  mfmaIndex:57  */
v_mfma_i32_32x32x8i8 a[16+0:31+0], v[vgprValuA_X7_I0+0+0+0], v[vgprValuB_X4_I0+4+3+0], a[16:31]
/*  mfmaIndex:58  */
s_waitcnt lgkmcnt(0)                               // lgkmcnt=0 vmcnt=-13wait for local write
s_waitcnt lgkmcnt(0) & vmcnt(0)                    // force waitcnt0
s_barrier //
v_mfma_i32_32x32x8i8 a[32+0:47+0], v[vgprValuA_X7_I0+0+0+0], v[vgprValuB_X4_I0+8+3+0], a[32:47]
/*  mfmaIndex:59  */
_ds_load_u8 v[vgprValuA_X0_I0+0], v[vgprLocalReadAddrA] offset:0 // L -> Reg lro=0 swapByteOffset=0 ti=128 vIdx=0 rIdx=0 oIdx=0 buffer=0 iui=0
_ds_load_u8 v107, v[vgprLocalReadAddrA] offset:136 // L -> Reg lro=0 swapByteOffset=0 ti=128 vIdx=0 rIdx=1 oIdx=0 buffer=0 iui=0
_ds_load_u8_d16_hi v108, v[vgprLocalReadAddrA] offset:272 // L -> Reg lro=0 swapByteOffset=0 ti=128 vIdx=0 rIdx=2 oIdx=0 buffer=0 iui=0
_ds_load_u8_d16_hi v109, v[vgprLocalReadAddrA] offset:408 // L -> Reg lro=0 swapByteOffset=0 ti=128 vIdx=0 rIdx=3 oIdx=0 buffer=0 iui=0
_ds_load_b128 v[vgprValuB_X0_I0+0:vgprValuB_X0_I0+0+3], v[vgprLocalReadAddrB] offset:0 // L -> Reg lro=0 swapByteOffset=0 ti=32 vIdx=0 rIdx=0 oIdx=0 buffer=0 iui=0
v_mfma_i32_32x32x8i8 a[48+0:63+0], v[vgprValuA_X7_I0+0+0+0], v[vgprValuB_X4_I0+12+3+0], a[48:63]
/*  mfmaIndex:60  */
_ds_load_b128 v[vgprValuB_X0_I0+4:vgprValuB_X0_I0+4+3], v[vgprLocalReadAddrB] offset:2304 // L -> Reg lro=0 swapByteOffset=0 ti=32 vIdx=1 rIdx=0 oIdx=0 buffer=0 iui=0
_ds_load_b128 v[vgprValuB_X0_I0+8:vgprValuB_X0_I0+8+3], v[vgprLocalReadAddrB] offset:4608 // L -> Reg lro=0 swapByteOffset=0 ti=32 vIdx=2 rIdx=0 oIdx=0 buffer=0 iui=0
	;; [unrolled: 1-line block ×3, first 2 shown]
v_mfma_i32_32x32x8i8 a[64+0:79+0], v[vgprValuA_X7_I0+0+0+0], v[vgprValuB_X4_I0+16+3+0], a[64:79]
/*  mfmaIndex:61  */
_ds_load_b128 v[vgprValuB_X0_I0+16:vgprValuB_X0_I0+16+3], v[vgprLocalReadAddrB] offset:9216 // L -> Reg lro=0 swapByteOffset=0 ti=32 vIdx=4 rIdx=0 oIdx=0 buffer=0 iui=0
_ds_load_b128 v[vgprValuB_X0_I0+20:vgprValuB_X0_I0+20+3], v[vgprLocalReadAddrB] offset:11520 // L -> Reg lro=0 swapByteOffset=0 ti=32 vIdx=5 rIdx=0 oIdx=0 buffer=0 iui=0
	;; [unrolled: 1-line block ×3, first 2 shown]
v_mfma_i32_32x32x8i8 a[80+0:95+0], v[vgprValuA_X7_I0+0+0+0], v[vgprValuB_X4_I0+20+3+0], a[80:95]
/*  mfmaIndex:62  */
_ds_load_b128 v[vgprValuB_X0_I0+28:vgprValuB_X0_I0+28+3], v[vgprLocalReadAddrB] offset:16128 // L -> Reg lro=0 swapByteOffset=0 ti=32 vIdx=7 rIdx=0 oIdx=0 buffer=0 iui=0
v_mfma_i32_32x32x8i8 a[96+0:111+0], v[vgprValuA_X7_I0+0+0+0], v[vgprValuB_X4_I0+24+3+0], a[96:111]
/*  mfmaIndex:63  */
v_mfma_i32_32x32x8i8 a[112+0:127+0], v[vgprValuA_X7_I0+0+0+0], v[vgprValuB_X4_I0+28+3+0], a[112:127]


/******************************************/
/* Unrolled Loop - End 1/2                */
/******************************************/


/* closeLoop loopL finalLoop=0 tailLoop=0 */
s_sub_u32 s[sgprLoopCounterL], s[sgprLoopCounterL], 1 // dec counterL
s_cmp_eq_i32 s[sgprLoopCounterL], 0x1              // counterL==1
s_cbranch_scc1 LoopEndL_oddexit_3                  // exit LoopL


/******************************************/
/* Unrolled Loop 2/2 - Begin              */
/******************************************/

label_0014: // LoopCopy2 


/* Begin Each Unroll: Check VGPR.checkin for INT8 LW */


	;; [unrolled: 1-line block ×3, first 2 shown]
/* iter 0 */

/*  grEndMfmaIndex:5, lwStartMfmaIndex:51, lwEndMfmaIndex:56  */
/*  numMfmaForLR:5, barrierMfmaIndex:58 */
/*  mfmaIndex:0  */
_buffer_load_b128 v[vgprG2LA+0:vgprG2LA+0+3], v[vgprGlobalReadOffsetA+0], s[sgprSrdA:sgprSrdA+3], 0, offen offset:0 // G -> Reg 0_0_0_0
s_waitcnt lgkmcnt(0)                               // lgkmcnt=0 vmcnt=-1wait for prior local read local write old=0, new=0 newLW=0 newLR=0
/* pack scheduling: packAIdx:3, packBIdx:0 */
_v_lshl_or_b32 v[vgprValuA_X0_I0+0], v107, 0x8, v[vgprValuA_X0_I0+0] // pack two int8 Vgpr to one half Vgpr
_v_lshl_or_b32 v108, v109, 0x8, v108               // pack two int8 Vgpr to one half Vgpr
v_or_b32 v[vgprValuA_X0_I0+0], v[vgprValuA_X0_I0+0], v108 // pack two half Vgpr to one Vgpr
s_nop  1                                           // VALU packing writes to be consumed by matrix instruction
v_mfma_i32_32x32x8i8 a[0+0:15+0], v[vgprValuA_X0_I0+0+0+0], v[vgprValuB_X0_I0+0+0+0], a[0:15]
/*  mfmaIndex:1  */
_ds_load_u8 v[vgprValuA_X1_I0+0], v[vgprLocalReadAddrA] offset:544 // L -> Reg lro=544 swapByteOffset=0 ti=128 vIdx=0 rIdx=0 oIdx=0 buffer=1 iui=0
_ds_load_u8 v110, v[vgprLocalReadAddrA] offset:680 // L -> Reg lro=544 swapByteOffset=0 ti=128 vIdx=0 rIdx=1 oIdx=0 buffer=1 iui=0
_ds_load_u8_d16_hi v111, v[vgprLocalReadAddrA] offset:816 // L -> Reg lro=544 swapByteOffset=0 ti=128 vIdx=0 rIdx=2 oIdx=0 buffer=1 iui=0
_ds_load_u8_d16_hi v112, v[vgprLocalReadAddrA] offset:952 // L -> Reg lro=544 swapByteOffset=0 ti=128 vIdx=0 rIdx=3 oIdx=0 buffer=1 iui=0
_ds_load_b128 v[vgprValuB_X4_I0+0:vgprValuB_X4_I0+0+3], v[vgprLocalReadAddrB] offset:32 // L -> Reg lro=32 swapByteOffset=0 ti=32 vIdx=0 rIdx=0 oIdx=0 buffer=4 iui=0
_buffer_load_b128 v[vgprG2LA+4:vgprG2LA+4+3], v[vgprGlobalReadOffsetA+1], s[sgprSrdA:sgprSrdA+3], 0, offen offset:0 // G -> Reg 0_0_1_0
v_mfma_i32_32x32x8i8 a[16+0:31+0], v[vgprValuA_X0_I0+0+0+0], v[vgprValuB_X0_I0+4+0+0], a[16:31]
/*  mfmaIndex:2  */
_ds_load_b128 v[vgprValuB_X4_I0+4:vgprValuB_X4_I0+4+3], v[vgprLocalReadAddrB] offset:2336 // L -> Reg lro=32 swapByteOffset=0 ti=32 vIdx=1 rIdx=0 oIdx=0 buffer=4 iui=0
_ds_load_b128 v[vgprValuB_X4_I0+8:vgprValuB_X4_I0+8+3], v[vgprLocalReadAddrB] offset:4640 // L -> Reg lro=32 swapByteOffset=0 ti=32 vIdx=2 rIdx=0 oIdx=0 buffer=4 iui=0
	;; [unrolled: 1-line block ×3, first 2 shown]
_buffer_load_b128 v[vgprG2LB+0:vgprG2LB+0+3], v[vgprGlobalReadOffsetB+0], s[sgprSrdB:sgprSrdB+3], 0, offen offset:0 // G -> Reg 0_0_0_0
v_mfma_i32_32x32x8i8 a[32+0:47+0], v[vgprValuA_X0_I0+0+0+0], v[vgprValuB_X0_I0+8+0+0], a[32:47]
/*  mfmaIndex:3  */
_ds_load_b128 v[vgprValuB_X4_I0+16:vgprValuB_X4_I0+16+3], v[vgprLocalReadAddrB] offset:9248 // L -> Reg lro=32 swapByteOffset=0 ti=32 vIdx=4 rIdx=0 oIdx=0 buffer=4 iui=0
_ds_load_b128 v[vgprValuB_X4_I0+20:vgprValuB_X4_I0+20+3], v[vgprLocalReadAddrB] offset:11552 // L -> Reg lro=32 swapByteOffset=0 ti=32 vIdx=5 rIdx=0 oIdx=0 buffer=4 iui=0
	;; [unrolled: 1-line block ×3, first 2 shown]
_buffer_load_b128 v[vgprG2LB+4:vgprG2LB+4+3], v[vgprGlobalReadOffsetB+1], s[sgprSrdB:sgprSrdB+3], 0, offen offset:0 // G -> Reg 0_0_1_0
v_mfma_i32_32x32x8i8 a[48+0:63+0], v[vgprValuA_X0_I0+0+0+0], v[vgprValuB_X0_I0+12+0+0], a[48:63]
/*  mfmaIndex:4  */
_ds_load_b128 v[vgprValuB_X4_I0+28:vgprValuB_X4_I0+28+3], v[vgprLocalReadAddrB] offset:16160 // L -> Reg lro=32 swapByteOffset=0 ti=32 vIdx=7 rIdx=0 oIdx=0 buffer=4 iui=0
/* localReadsVacancy: latencyLeft 9 */
_ds_load_u8 v[vgprValuA_X2_I0+0], v[vgprLocalReadAddrA] offset:1088 // L -> Reg lro=1088 swapByteOffset=0 ti=128 vIdx=0 rIdx=0 oIdx=0 buffer=2 iui=0
_ds_load_u8 v[vgprValuA_X3_I0+0], v[vgprLocalReadAddrA] offset:1632 // L -> Reg lro=1632 swapByteOffset=0 ti=128 vIdx=0 rIdx=0 oIdx=0 buffer=3 iui=0
_ds_load_u8 v[vgprValuA_X4_I0+0], v[vgprLocalReadAddrA] offset:4352 // L -> Reg lro=4352 swapByteOffset=0 ti=128 vIdx=0 rIdx=0 oIdx=0 buffer=4 iui=0
_ds_load_u8 v[vgprValuA_X5_I0+0], v[vgprLocalReadAddrA] offset:4896 // L -> Reg lro=4896 swapByteOffset=0 ti=128 vIdx=0 rIdx=0 oIdx=0 buffer=5 iui=0
_buffer_load_b128 v[vgprG2LB+8:vgprG2LB+8+3], v[vgprGlobalReadOffsetB+2], s[sgprSrdB:sgprSrdB+3], 0, offen offset:0 // G -> Reg 0_0_2_0
v_mfma_i32_32x32x8i8 a[64+0:79+0], v[vgprValuA_X0_I0+0+0+0], v[vgprValuB_X0_I0+16+0+0], a[64:79]
/*  mfmaIndex:5  */
/* localReadsVacancy: latencyLeft 13 */
_ds_load_u8 v[vgprValuA_X6_I0+0], v[vgprLocalReadAddrA] offset:5440 // L -> Reg lro=5440 swapByteOffset=0 ti=128 vIdx=0 rIdx=0 oIdx=0 buffer=6 iui=0
_ds_load_u8 v[vgprValuA_X7_I0+0], v[vgprLocalReadAddrA] offset:5984 // L -> Reg lro=5984 swapByteOffset=0 ti=128 vIdx=0 rIdx=0 oIdx=0 buffer=7 iui=0
_buffer_load_b128 v[vgprG2LB+12:vgprG2LB+12+3], v[vgprGlobalReadOffsetB+3], s[sgprSrdB:sgprSrdB+3], 0, offen offset:0 // G -> Reg 0_0_3_0
v_mfma_i32_32x32x8i8 a[80+0:95+0], v[vgprValuA_X0_I0+0+0+0], v[vgprValuB_X0_I0+20+0+0], a[80:95]
/*  mfmaIndex:6  */
/* localReadsVacancy: latencyLeft 13 */

/* global read inc A loopL */
s_cmp_eq_u32 s[sgprLoopCounterL], s[sgprStaggerUIter] // Is this the wrapIter?
s_cselect_b32 s54, s[sgprWrapUA+0], s[sgprGlobalReadIncsA+0] // incLower <- ?
s_cselect_b32 s55, s[sgprWrapUA+1], 0              // incUpper <- ?
s_add_u32 s[sgprSrdA+0], s[sgprSrdA+0], s54        // gra SRD += inc(lower)
s_addc_u32  s[sgprSrdA+1], s[sgprSrdA+1], s55      // gra SRD += inc(upper)
s_sub_u32 s[sgprShadowLimitA+0], s[sgprShadowLimitA+0], s54 // limit -= inc)
s_subb_u32 s[sgprShadowLimitA+1], s[sgprShadowLimitA+1], s55 // limit -= inc)
v_mfma_i32_32x32x8i8 a[96+0:111+0], v[vgprValuA_X0_I0+0+0+0], v[vgprValuB_X0_I0+24+0+0], a[96:111]
/*  mfmaIndex:7  */
/* localReadsVacancy: latencyLeft 13 */
s_cmp_eq_u32 s[sgprShadowLimitA+1], 0              // are we within 2^32?
s_cselect_b32 s[sgprSrdA+2], s[sgprShadowLimitA+0], BufferLimitA // Move shadow to real if we are within 2^32

/* global read inc B loopL */
s_cmp_eq_u32 s[sgprLoopCounterL], s[sgprStaggerUIter] // Is this the wrapIter?
s_cselect_b32 s54, s[sgprWrapUB+0], s[sgprGlobalReadIncsB+0] // incLower <- ?
s_cselect_b32 s55, s[sgprWrapUB+1], 0              // incUpper <- ?
s_add_u32 s[sgprSrdB+0], s[sgprSrdB+0], s54        // gra SRD += inc(lower)
s_addc_u32  s[sgprSrdB+1], s[sgprSrdB+1], s55      // gra SRD += inc(upper)
v_mfma_i32_32x32x8i8 a[112+0:127+0], v[vgprValuA_X0_I0+0+0+0], v[vgprValuB_X0_I0+28+0+0], a[112:127]
/* numPrefetchIter=0 */
/* dataAtIterA=-1 numReadsIterA=1 skipReadsIterA=1 readsPerIterA=4 */
/* dataAtIterB=-1 numReadsIterB=1 skipReadsIterB=1 readsPerIterB=8 */


/* iter 1 */

/*  grEndMfmaIndex:5, lwStartMfmaIndex:51, lwEndMfmaIndex:56  */
/*  numMfmaForLR:5, barrierMfmaIndex:58 */
/*  mfmaIndex:8  */
_ds_load_u8 v107, v[vgprLocalReadAddrA] offset:1224 // L -> Reg lro=1088 swapByteOffset=0 ti=128 vIdx=0 rIdx=1 oIdx=0 buffer=2 iui=0
_ds_load_u8_d16_hi v108, v[vgprLocalReadAddrA] offset:1360 // L -> Reg lro=1088 swapByteOffset=0 ti=128 vIdx=0 rIdx=2 oIdx=0 buffer=2 iui=0
_ds_load_u8_d16_hi v109, v[vgprLocalReadAddrA] offset:1496 // L -> Reg lro=1088 swapByteOffset=0 ti=128 vIdx=0 rIdx=3 oIdx=0 buffer=2 iui=0
/* localReadsVacancy: latencyLeft 7 */
s_sub_u32 s[sgprShadowLimitB+0], s[sgprShadowLimitB+0], s54 // limit -= inc)
s_subb_u32 s[sgprShadowLimitB+1], s[sgprShadowLimitB+1], s55 // limit -= inc)
s_cmp_eq_u32 s[sgprShadowLimitB+1], 0              // are we within 2^32?
s_cselect_b32 s[sgprSrdB+2], s[sgprShadowLimitB+0], BufferLimitB // Move shadow to real if we are within 2^32
s_waitcnt lgkmcnt(9)                               // lgkmcnt=0 vmcnt=-1wait for prior local read local write old=1, new=4 newLW=0 newLR=3
/* pack scheduling: packAIdx:3, packBIdx:0 */
_v_lshl_or_b32 v[vgprValuA_X1_I0+0], v110, 0x8, v[vgprValuA_X1_I0+0] // pack two int8 Vgpr to one half Vgpr
_v_lshl_or_b32 v111, v112, 0x8, v111               // pack two int8 Vgpr to one half Vgpr
v_or_b32 v[vgprValuA_X1_I0+0], v[vgprValuA_X1_I0+0], v111 // pack two half Vgpr to one Vgpr
s_nop  1                                           // VALU packing writes to be consumed by matrix instruction
v_mfma_i32_32x32x8i8 a[0+0:15+0], v[vgprValuA_X1_I0+0+0+0], v[vgprValuB_X0_I0+0+1+0], a[0:15]
/*  mfmaIndex:9  */
/* localReadsVacancy: latencyLeft 13 */
v_mfma_i32_32x32x8i8 a[16+0:31+0], v[vgprValuA_X1_I0+0+0+0], v[vgprValuB_X0_I0+4+1+0], a[16:31]
/*  mfmaIndex:10  */
/* localReadsVacancy: latencyLeft 13 */
	;; [unrolled: 3-line block ×7, first 2 shown]
v_mfma_i32_32x32x8i8 a[112+0:127+0], v[vgprValuA_X1_I0+0+0+0], v[vgprValuB_X0_I0+28+1+0], a[112:127]
/* numPrefetchIter=0 */
/* dataAtIterA=0 numReadsIterA=2 skipReadsIterA=1 readsPerIterA=4 */
/* dataAtIterB=-1 numReadsIterB=1 skipReadsIterB=0 readsPerIterB=8 */


/* iter 2 */

/*  grEndMfmaIndex:5, lwStartMfmaIndex:51, lwEndMfmaIndex:56  */
/*  numMfmaForLR:5, barrierMfmaIndex:58 */
/*  mfmaIndex:16  */
_ds_load_u8 v110, v[vgprLocalReadAddrA] offset:1768 // L -> Reg lro=1632 swapByteOffset=0 ti=128 vIdx=0 rIdx=1 oIdx=0 buffer=3 iui=0
_ds_load_u8_d16_hi v111, v[vgprLocalReadAddrA] offset:1904 // L -> Reg lro=1632 swapByteOffset=0 ti=128 vIdx=0 rIdx=2 oIdx=0 buffer=3 iui=0
_ds_load_u8_d16_hi v112, v[vgprLocalReadAddrA] offset:2040 // L -> Reg lro=1632 swapByteOffset=0 ti=128 vIdx=0 rIdx=3 oIdx=0 buffer=3 iui=0
/* localReadsVacancy: latencyLeft 7 */
s_waitcnt lgkmcnt(3)                               // lgkmcnt=0 vmcnt=-1wait for prior local read local write old=0, new=3 newLW=0 newLR=3
/* pack scheduling: packAIdx:3, packBIdx:0 */
_v_lshl_or_b32 v[vgprValuA_X2_I0+0], v107, 0x8, v[vgprValuA_X2_I0+0] // pack two int8 Vgpr to one half Vgpr
_v_lshl_or_b32 v108, v109, 0x8, v108               // pack two int8 Vgpr to one half Vgpr
v_or_b32 v[vgprValuA_X2_I0+0], v[vgprValuA_X2_I0+0], v108 // pack two half Vgpr to one Vgpr
s_nop  1                                           // VALU packing writes to be consumed by matrix instruction
v_mfma_i32_32x32x8i8 a[0+0:15+0], v[vgprValuA_X2_I0+0+0+0], v[vgprValuB_X0_I0+0+2+0], a[0:15]
/*  mfmaIndex:17  */
/* localReadsVacancy: latencyLeft 13 */
v_mfma_i32_32x32x8i8 a[16+0:31+0], v[vgprValuA_X2_I0+0+0+0], v[vgprValuB_X0_I0+4+2+0], a[16:31]
/*  mfmaIndex:18  */
/* localReadsVacancy: latencyLeft 13 */
	;; [unrolled: 3-line block ×7, first 2 shown]
v_mfma_i32_32x32x8i8 a[112+0:127+0], v[vgprValuA_X2_I0+0+0+0], v[vgprValuB_X0_I0+28+2+0], a[112:127]
/* numPrefetchIter=0 */
/* dataAtIterA=1 numReadsIterA=3 skipReadsIterA=1 readsPerIterA=4 */
/* dataAtIterB=-1 numReadsIterB=1 skipReadsIterB=0 readsPerIterB=8 */


/* iter 3 */

/*  grEndMfmaIndex:5, lwStartMfmaIndex:51, lwEndMfmaIndex:56  */
/*  numMfmaForLR:5, barrierMfmaIndex:58 */
/*  mfmaIndex:24  */
_ds_load_u8 v107, v[vgprLocalReadAddrA] offset:4488 // L -> Reg lro=4352 swapByteOffset=0 ti=128 vIdx=0 rIdx=1 oIdx=0 buffer=4 iui=0
_ds_load_u8_d16_hi v108, v[vgprLocalReadAddrA] offset:4624 // L -> Reg lro=4352 swapByteOffset=0 ti=128 vIdx=0 rIdx=2 oIdx=0 buffer=4 iui=0
_ds_load_u8_d16_hi v109, v[vgprLocalReadAddrA] offset:4760 // L -> Reg lro=4352 swapByteOffset=0 ti=128 vIdx=0 rIdx=3 oIdx=0 buffer=4 iui=0
/* localReadsVacancy: latencyLeft 7 */
s_waitcnt lgkmcnt(3)                               // lgkmcnt=0 vmcnt=-1wait for prior local read local write old=0, new=3 newLW=0 newLR=3
/* pack scheduling: packAIdx:3, packBIdx:0 */
_v_lshl_or_b32 v[vgprValuA_X3_I0+0], v110, 0x8, v[vgprValuA_X3_I0+0] // pack two int8 Vgpr to one half Vgpr
_v_lshl_or_b32 v111, v112, 0x8, v111               // pack two int8 Vgpr to one half Vgpr
v_or_b32 v[vgprValuA_X3_I0+0], v[vgprValuA_X3_I0+0], v111 // pack two half Vgpr to one Vgpr
s_nop  1                                           // VALU packing writes to be consumed by matrix instruction
v_mfma_i32_32x32x8i8 a[0+0:15+0], v[vgprValuA_X3_I0+0+0+0], v[vgprValuB_X0_I0+0+3+0], a[0:15]
/*  mfmaIndex:25  */
/* localReadsVacancy: latencyLeft 13 */
v_mfma_i32_32x32x8i8 a[16+0:31+0], v[vgprValuA_X3_I0+0+0+0], v[vgprValuB_X0_I0+4+3+0], a[16:31]
/*  mfmaIndex:26  */
/* localReadsVacancy: latencyLeft 13 */
	;; [unrolled: 3-line block ×7, first 2 shown]
v_mfma_i32_32x32x8i8 a[112+0:127+0], v[vgprValuA_X3_I0+0+0+0], v[vgprValuB_X0_I0+28+3+0], a[112:127]
/* numPrefetchIter=0 */
/* dataAtIterA=2 numReadsIterA=4 skipReadsIterA=1 readsPerIterA=4 */
/* dataAtIterB=-1 numReadsIterB=1 skipReadsIterB=0 readsPerIterB=8 */


/* iter 4 */

/*  grEndMfmaIndex:5, lwStartMfmaIndex:51, lwEndMfmaIndex:56  */
/*  numMfmaForLR:5, barrierMfmaIndex:58 */
/*  mfmaIndex:32  */
_ds_load_u8 v110, v[vgprLocalReadAddrA] offset:5032 // L -> Reg lro=4896 swapByteOffset=0 ti=128 vIdx=0 rIdx=1 oIdx=0 buffer=5 iui=0
_ds_load_u8_d16_hi v111, v[vgprLocalReadAddrA] offset:5168 // L -> Reg lro=4896 swapByteOffset=0 ti=128 vIdx=0 rIdx=2 oIdx=0 buffer=5 iui=0
_ds_load_u8_d16_hi v112, v[vgprLocalReadAddrA] offset:5304 // L -> Reg lro=4896 swapByteOffset=0 ti=128 vIdx=0 rIdx=3 oIdx=0 buffer=5 iui=0
/* localReadsVacancy: latencyLeft 7 */
s_waitcnt lgkmcnt(3)                               // lgkmcnt=0 vmcnt=-1wait for prior local read local write old=0, new=3 newLW=0 newLR=3
/* pack scheduling: packAIdx:3, packBIdx:0 */
_v_lshl_or_b32 v[vgprValuA_X4_I0+0], v107, 0x8, v[vgprValuA_X4_I0+0] // pack two int8 Vgpr to one half Vgpr
_v_lshl_or_b32 v108, v109, 0x8, v108               // pack two int8 Vgpr to one half Vgpr
v_or_b32 v[vgprValuA_X4_I0+0], v[vgprValuA_X4_I0+0], v108 // pack two half Vgpr to one Vgpr
s_nop  1                                           // VALU packing writes to be consumed by matrix instruction
v_mfma_i32_32x32x8i8 a[0+0:15+0], v[vgprValuA_X4_I0+0+0+0], v[vgprValuB_X4_I0+0+0+0], a[0:15]
/*  mfmaIndex:33  */
/* localReadsVacancy: latencyLeft 13 */
v_mfma_i32_32x32x8i8 a[16+0:31+0], v[vgprValuA_X4_I0+0+0+0], v[vgprValuB_X4_I0+4+0+0], a[16:31]
/*  mfmaIndex:34  */
/* localReadsVacancy: latencyLeft 13 */
	;; [unrolled: 3-line block ×7, first 2 shown]
v_mfma_i32_32x32x8i8 a[112+0:127+0], v[vgprValuA_X4_I0+0+0+0], v[vgprValuB_X4_I0+28+0+0], a[112:127]
/* numPrefetchIter=0 */
/* dataAtIterA=3 numReadsIterA=5 skipReadsIterA=1 readsPerIterA=4 */
/* dataAtIterB=0 numReadsIterB=1 skipReadsIterB=0 readsPerIterB=8 */


/* iter 5 */

/*  grEndMfmaIndex:5, lwStartMfmaIndex:51, lwEndMfmaIndex:56  */
/*  numMfmaForLR:5, barrierMfmaIndex:58 */
/*  mfmaIndex:40  */
_ds_load_u8 v107, v[vgprLocalReadAddrA] offset:5576 // L -> Reg lro=5440 swapByteOffset=0 ti=128 vIdx=0 rIdx=1 oIdx=0 buffer=6 iui=0
_ds_load_u8_d16_hi v108, v[vgprLocalReadAddrA] offset:5712 // L -> Reg lro=5440 swapByteOffset=0 ti=128 vIdx=0 rIdx=2 oIdx=0 buffer=6 iui=0
_ds_load_u8_d16_hi v109, v[vgprLocalReadAddrA] offset:5848 // L -> Reg lro=5440 swapByteOffset=0 ti=128 vIdx=0 rIdx=3 oIdx=0 buffer=6 iui=0
/* localReadsVacancy: latencyLeft 7 */
s_waitcnt lgkmcnt(3)                               // lgkmcnt=0 vmcnt=-1wait for prior local read local write old=0, new=3 newLW=0 newLR=3
/* pack scheduling: packAIdx:3, packBIdx:0 */
_v_lshl_or_b32 v[vgprValuA_X5_I0+0], v110, 0x8, v[vgprValuA_X5_I0+0] // pack two int8 Vgpr to one half Vgpr
_v_lshl_or_b32 v111, v112, 0x8, v111               // pack two int8 Vgpr to one half Vgpr
v_or_b32 v[vgprValuA_X5_I0+0], v[vgprValuA_X5_I0+0], v111 // pack two half Vgpr to one Vgpr
s_nop  1                                           // VALU packing writes to be consumed by matrix instruction
v_mfma_i32_32x32x8i8 a[0+0:15+0], v[vgprValuA_X5_I0+0+0+0], v[vgprValuB_X4_I0+0+1+0], a[0:15]
/*  mfmaIndex:41  */
/* localReadsVacancy: latencyLeft 13 */
v_mfma_i32_32x32x8i8 a[16+0:31+0], v[vgprValuA_X5_I0+0+0+0], v[vgprValuB_X4_I0+4+1+0], a[16:31]
/*  mfmaIndex:42  */
/* localReadsVacancy: latencyLeft 13 */
	;; [unrolled: 3-line block ×7, first 2 shown]
v_mfma_i32_32x32x8i8 a[112+0:127+0], v[vgprValuA_X5_I0+0+0+0], v[vgprValuB_X4_I0+28+1+0], a[112:127]
/* numPrefetchIter=0 */
/* dataAtIterA=4 numReadsIterA=6 skipReadsIterA=1 readsPerIterA=4 */
/* dataAtIterB=0 numReadsIterB=1 skipReadsIterB=0 readsPerIterB=8 */


/* iter 6 (reset local read pointers iteration)  (swap local read pointers iteration)  */

/*  grEndMfmaIndex:5, lwStartMfmaIndex:51, lwEndMfmaIndex:56  */
/*  numMfmaForLR:5, barrierMfmaIndex:58 */
/*  mfmaIndex:48  */
_ds_load_u8 v110, v[vgprLocalReadAddrA] offset:6120 // L -> Reg lro=5984 swapByteOffset=0 ti=128 vIdx=0 rIdx=1 oIdx=0 buffer=7 iui=0
_ds_load_u8_d16_hi v111, v[vgprLocalReadAddrA] offset:6256 // L -> Reg lro=5984 swapByteOffset=0 ti=128 vIdx=0 rIdx=2 oIdx=0 buffer=7 iui=0
_ds_load_u8_d16_hi v112, v[vgprLocalReadAddrA] offset:6392 // L -> Reg lro=5984 swapByteOffset=0 ti=128 vIdx=0 rIdx=3 oIdx=0 buffer=7 iui=0
/* localReadsVacancy: latencyLeft 7 */
s_waitcnt lgkmcnt(3)                               // lgkmcnt=0 vmcnt=-1wait for prior local read local write old=0, new=3 newLW=0 newLR=3
/* pack scheduling: packAIdx:3, packBIdx:0 */
_v_lshl_or_b32 v[vgprValuA_X6_I0+0], v107, 0x8, v[vgprValuA_X6_I0+0] // pack two int8 Vgpr to one half Vgpr
_v_lshl_or_b32 v108, v109, 0x8, v108               // pack two int8 Vgpr to one half Vgpr
v_or_b32 v[vgprValuA_X6_I0+0], v[vgprValuA_X6_I0+0], v108 // pack two half Vgpr to one Vgpr
s_nop  1                                           // VALU packing writes to be consumed by matrix instruction
v_mfma_i32_32x32x8i8 a[0+0:15+0], v[vgprValuA_X6_I0+0+0+0], v[vgprValuB_X4_I0+0+2+0], a[0:15]
/*  mfmaIndex:49  */
/* localReadsVacancy: latencyLeft 13 */
v_mfma_i32_32x32x8i8 a[16+0:31+0], v[vgprValuA_X6_I0+0+0+0], v[vgprValuB_X4_I0+4+2+0], a[16:31]
/*  mfmaIndex:50  */
/* localReadsVacancy: latencyLeft 13 */
/* 1 LDS buffer: read-sync-write */
s_waitcnt lgkmcnt(0)                               // 
s_barrier                                          // 
v_mfma_i32_32x32x8i8 a[32+0:47+0], v[vgprValuA_X6_I0+0+0+0], v[vgprValuB_X4_I0+8+2+0], a[32:47]
/*  mfmaIndex:51  */
/* localReadsVacancy: latencyLeft 3 */
/* sched write - iter 6 writesPerItem=1 */
s_waitcnt vmcnt(0)                                 // lgkmcnt=-1 vmcnt=0wait for global read before writing to local
_ds_store_b128 v[vgprLocalWriteAddrA], v[vgprG2LA+0:vgprG2LA+0+3] offset:0 // lwoA_0_0_0_0 = (0*LSCA) + (0*LSPA)(*MT0I+PAD) = 0
v_mfma_i32_32x32x8i8 a[48+0:63+0], v[vgprValuA_X6_I0+0+0+0], v[vgprValuB_X4_I0+12+2+0], a[48:63]
/*  mfmaIndex:52  */
/* sched write - iter 6 writesPerItem=1 */
s_waitcnt vmcnt(0)                                 // lgkmcnt=-1 vmcnt=0wait for global read before writing to local
_ds_store_b128 v[vgprLocalWriteAddrA], v[vgprG2LA+4:vgprG2LA+4+3] offset:1088 // lwoA_0_0_1_0 = (0*LSCA) + (1*LSPA)(*MT0I+PAD) = 1088
v_mfma_i32_32x32x8i8 a[64+0:79+0], v[vgprValuA_X6_I0+0+0+0], v[vgprValuB_X4_I0+16+2+0], a[64:79]
/*  mfmaIndex:53  */
/* sched write - iter 6 writesPerItem=1 */
s_waitcnt vmcnt(0)                                 // lgkmcnt=-1 vmcnt=0wait for global read before writing to local
_ds_store_b128 v[vgprLocalWriteAddrB], v[vgprG2LB+0:vgprG2LB+0+3] offset:0 // lwoB_0_0_0_0 = (0*LSCB)*(MT1J+PAD) + (0*LSPB) = 0
v_mfma_i32_32x32x8i8 a[80+0:95+0], v[vgprValuA_X6_I0+0+0+0], v[vgprValuB_X4_I0+20+2+0], a[80:95]
/*  mfmaIndex:54  */
/* sched write - iter 6 writesPerItem=1 */
s_waitcnt vmcnt(0)                                 // lgkmcnt=-1 vmcnt=0wait for global read before writing to local
_ds_store_b128 v[vgprLocalWriteAddrB], v[vgprG2LB+4:vgprG2LB+4+3] offset:1152 // lwoB_0_0_1_0 = (0*LSCB)*(MT1J+PAD) + (1*LSPB) = 1152
v_mfma_i32_32x32x8i8 a[96+0:111+0], v[vgprValuA_X6_I0+0+0+0], v[vgprValuB_X4_I0+24+2+0], a[96:111]
/*  mfmaIndex:55  */
/* sched write - iter 6 writesPerItem=1 */
s_waitcnt vmcnt(0)                                 // lgkmcnt=-1 vmcnt=0wait for global read before writing to local
_ds_store_b128 v[vgprLocalWriteAddrB], v[vgprG2LB+8:vgprG2LB+8+3] offset:2304 // lwoB_0_0_2_0 = (0*LSCB)*(MT1J+PAD) + (2*LSPB) = 2304

/* local read swap offsets a */

/* local read swap offsets b */

/* local read init pointers a */

/* localReadInitPointers */

/* local read init pointers b */

/* localReadInitPointers */
v_mfma_i32_32x32x8i8 a[112+0:127+0], v[vgprValuA_X6_I0+0+0+0], v[vgprValuB_X4_I0+28+2+0], a[112:127]
/* numPrefetchIter=0 */
/* dataAtIterA=5 numReadsIterA=7 skipReadsIterA=1 readsPerIterA=4 */
/* dataAtIterB=0 numReadsIterB=1 skipReadsIterB=0 readsPerIterB=8 */


/* iter 7 (swap and reset local write pointers iteration)  */

/*  grEndMfmaIndex:5, lwStartMfmaIndex:51, lwEndMfmaIndex:56  */
/*  numMfmaForLR:5, barrierMfmaIndex:58 */
/*  mfmaIndex:56  */
/* sched write - iter 7 writesPerItem=1 */
s_waitcnt vmcnt(0)                                 // lgkmcnt=-1 vmcnt=0wait for global read before writing to local
_ds_store_b128 v[vgprLocalWriteAddrB], v[vgprG2LB+12:vgprG2LB+12+3] offset:3456 // lwoB_0_0_3_0 = (0*LSCB)*(MT1J+PAD) + (3*LSPB) = 3456

/* local write swap offsets a */

/* local write swap offsets b */
/* pack scheduling: packAIdx:3, packBIdx:0 */
_v_lshl_or_b32 v[vgprValuA_X7_I0+0], v110, 0x8, v[vgprValuA_X7_I0+0] // pack two int8 Vgpr to one half Vgpr
_v_lshl_or_b32 v111, v112, 0x8, v111               // pack two int8 Vgpr to one half Vgpr
v_or_b32 v[vgprValuA_X7_I0+0], v[vgprValuA_X7_I0+0], v111 // pack two half Vgpr to one Vgpr
s_nop  1                                           // VALU packing writes to be consumed by matrix instruction
v_mfma_i32_32x32x8i8 a[0+0:15+0], v[vgprValuA_X7_I0+0+0+0], v[vgprValuB_X4_I0+0+3+0], a[0:15]
/*  mfmaIndex:57  */
v_mfma_i32_32x32x8i8 a[16+0:31+0], v[vgprValuA_X7_I0+0+0+0], v[vgprValuB_X4_I0+4+3+0], a[16:31]
/*  mfmaIndex:58  */
s_waitcnt lgkmcnt(0)                               // lgkmcnt=0 vmcnt=-13wait for local write
s_waitcnt lgkmcnt(0) & vmcnt(0)                    // force waitcnt0
s_barrier //
v_mfma_i32_32x32x8i8 a[32+0:47+0], v[vgprValuA_X7_I0+0+0+0], v[vgprValuB_X4_I0+8+3+0], a[32:47]
/*  mfmaIndex:59  */
_ds_load_u8 v[vgprValuA_X0_I0+0], v[vgprLocalReadAddrA] offset:0 // L -> Reg lro=0 swapByteOffset=0 ti=128 vIdx=0 rIdx=0 oIdx=0 buffer=0 iui=0
_ds_load_u8 v107, v[vgprLocalReadAddrA] offset:136 // L -> Reg lro=0 swapByteOffset=0 ti=128 vIdx=0 rIdx=1 oIdx=0 buffer=0 iui=0
_ds_load_u8_d16_hi v108, v[vgprLocalReadAddrA] offset:272 // L -> Reg lro=0 swapByteOffset=0 ti=128 vIdx=0 rIdx=2 oIdx=0 buffer=0 iui=0
_ds_load_u8_d16_hi v109, v[vgprLocalReadAddrA] offset:408 // L -> Reg lro=0 swapByteOffset=0 ti=128 vIdx=0 rIdx=3 oIdx=0 buffer=0 iui=0
_ds_load_b128 v[vgprValuB_X0_I0+0:vgprValuB_X0_I0+0+3], v[vgprLocalReadAddrB] offset:0 // L -> Reg lro=0 swapByteOffset=0 ti=32 vIdx=0 rIdx=0 oIdx=0 buffer=0 iui=0
v_mfma_i32_32x32x8i8 a[48+0:63+0], v[vgprValuA_X7_I0+0+0+0], v[vgprValuB_X4_I0+12+3+0], a[48:63]
/*  mfmaIndex:60  */
_ds_load_b128 v[vgprValuB_X0_I0+4:vgprValuB_X0_I0+4+3], v[vgprLocalReadAddrB] offset:2304 // L -> Reg lro=0 swapByteOffset=0 ti=32 vIdx=1 rIdx=0 oIdx=0 buffer=0 iui=0
_ds_load_b128 v[vgprValuB_X0_I0+8:vgprValuB_X0_I0+8+3], v[vgprLocalReadAddrB] offset:4608 // L -> Reg lro=0 swapByteOffset=0 ti=32 vIdx=2 rIdx=0 oIdx=0 buffer=0 iui=0
	;; [unrolled: 1-line block ×3, first 2 shown]
v_mfma_i32_32x32x8i8 a[64+0:79+0], v[vgprValuA_X7_I0+0+0+0], v[vgprValuB_X4_I0+16+3+0], a[64:79]
/*  mfmaIndex:61  */
_ds_load_b128 v[vgprValuB_X0_I0+16:vgprValuB_X0_I0+16+3], v[vgprLocalReadAddrB] offset:9216 // L -> Reg lro=0 swapByteOffset=0 ti=32 vIdx=4 rIdx=0 oIdx=0 buffer=0 iui=0
_ds_load_b128 v[vgprValuB_X0_I0+20:vgprValuB_X0_I0+20+3], v[vgprLocalReadAddrB] offset:11520 // L -> Reg lro=0 swapByteOffset=0 ti=32 vIdx=5 rIdx=0 oIdx=0 buffer=0 iui=0
	;; [unrolled: 1-line block ×3, first 2 shown]
v_mfma_i32_32x32x8i8 a[80+0:95+0], v[vgprValuA_X7_I0+0+0+0], v[vgprValuB_X4_I0+20+3+0], a[80:95]
/*  mfmaIndex:62  */
_ds_load_b128 v[vgprValuB_X0_I0+28:vgprValuB_X0_I0+28+3], v[vgprLocalReadAddrB] offset:16128 // L -> Reg lro=0 swapByteOffset=0 ti=32 vIdx=7 rIdx=0 oIdx=0 buffer=0 iui=0
v_mfma_i32_32x32x8i8 a[96+0:111+0], v[vgprValuA_X7_I0+0+0+0], v[vgprValuB_X4_I0+24+3+0], a[96:111]
/*  mfmaIndex:63  */
v_mfma_i32_32x32x8i8 a[112+0:127+0], v[vgprValuA_X7_I0+0+0+0], v[vgprValuB_X4_I0+28+3+0], a[112:127]


/******************************************/
/* Unrolled Loop - End 2/2 (final)        */
/******************************************/


/* closeLoop loopL finalLoop=1 tailLoop=0 */
s_sub_u32 s[sgprLoopCounterL], s[sgprLoopCounterL], 1 // dec counterL
s_cmp_eq_i32 s[sgprLoopCounterL], 0x1              // counterL==1
s_cbranch_scc0 LoopBeginL_1                        // restart LoopL
LoopEndL_evenexit_4: // unroll loop eveniter exit
s_branch LoopEndL_2                                // exit unroll loopL (and skip second exit code)
LoopEndL_oddexit_3: // unroll loop odditer exit

/* Select high bank of LDS */
LoopEndL_2:


/* Before NLL: Check VGPR.checkin for INT8 LW */


/******************************************/
/* Opt. NoLoadLoop Without PAP - Begin                                      */
/******************************************/

s_cmpk_eq_u32 s[sgprBeta], 0x0                     // Beta == 0
s_cbranch_scc0 OptNLL_End_15                       // Branch if Beta is not zero

s_cmp_eq_u32 s[sgprAlpha], 1                       // Alpha == 1.0 ?
s_cbranch_scc0 OptNLL_End_15                       // branch if alpha != 1

s_and_b32 s54, 127, s[sgprSizeI]                   // s54 = s[sgprSizeI] % 128
s_add_u32 s55, -0x1, s[sgprNumWorkGroups0]         // 
s_cmp_ge_u32 s[sgprWorkGroup0], s55                // wg0 >= nwg0-1 ?
s_cselect_b32 s54, s54, 0                          // set rMT0
s_cmpk_gt_u32 s54, 0x0                             // rMT0 > 0
s_cbranch_scc1 OptNLL_End_15                       // jump if edges required
s_and_b32 s54, 255, s[sgprSizeJ]                   // s54 = s[sgprSizeJ] % 256
s_add_u32 s55, -0x1, s[sgprNumWorkGroups1]         // 
s_cmp_ge_u32 s[sgprWorkGroup1], s55                // wg1 >= nwg1-1
s_cselect_b32 s54, s54, 0                          // set rMT1
s_cmpk_gt_u32 s54, 0x0                             // rMT1 > 0
s_cbranch_scc1 OptNLL_End_15                       // jump if edges required

s_and_b32 s55, 63, s[sgprSizesSum+0]               // s55 = s[sgprSizesSum+0] % 64
s_cmp_eq_u32 s55, 0x0                              // numIterL == 0
s_cbranch_scc0 OptNLL_End_15                       // skip if tail loop required


	;; [unrolled: 1-line block ×3, first 2 shown]
/* iter 0 (last unrolled loop) */

/*  grEndMfmaIndex:0, lwStartMfmaIndex:56, lwEndMfmaIndex:56  */
/*  numMfmaForLR:5, barrierMfmaIndex:58 */
/*  mfmaIndex:0  */
s_waitcnt lgkmcnt(0)                               // lgkmcnt=0 vmcnt=-1wait for prior local read local write old=0, new=0 newLW=0 newLR=0
/* pack scheduling: packAIdx:3, packBIdx:0 */
_v_lshl_or_b32 v[vgprValuA_X0_I0+0], v107, 0x8, v[vgprValuA_X0_I0+0] // pack two int8 Vgpr to one half Vgpr
_v_lshl_or_b32 v108, v109, 0x8, v108               // pack two int8 Vgpr to one half Vgpr
v_or_b32 v[vgprValuA_X0_I0+0], v[vgprValuA_X0_I0+0], v108 // pack two half Vgpr to one Vgpr
s_nop  1                                           // VALU packing writes to be consumed by matrix instruction
v_mfma_i32_32x32x8i8 a[0+0:15+0], v[vgprValuA_X0_I0+0+0+0], v[vgprValuB_X0_I0+0+0+0], a[0:15]
/*  mfmaIndex:1  */
_ds_load_u8 v[vgprValuA_X1_I0+0], v[vgprLocalReadAddrA] offset:544 // L -> Reg lro=544 swapByteOffset=0 ti=128 vIdx=0 rIdx=0 oIdx=0 buffer=1 iui=0
_ds_load_u8 v110, v[vgprLocalReadAddrA] offset:680 // L -> Reg lro=544 swapByteOffset=0 ti=128 vIdx=0 rIdx=1 oIdx=0 buffer=1 iui=0
_ds_load_u8_d16_hi v111, v[vgprLocalReadAddrA] offset:816 // L -> Reg lro=544 swapByteOffset=0 ti=128 vIdx=0 rIdx=2 oIdx=0 buffer=1 iui=0
_ds_load_u8_d16_hi v112, v[vgprLocalReadAddrA] offset:952 // L -> Reg lro=544 swapByteOffset=0 ti=128 vIdx=0 rIdx=3 oIdx=0 buffer=1 iui=0
_ds_load_b128 v[vgprValuB_X4_I0+0:vgprValuB_X4_I0+0+3], v[vgprLocalReadAddrB] offset:32 // L -> Reg lro=32 swapByteOffset=0 ti=32 vIdx=0 rIdx=0 oIdx=0 buffer=4 iui=0
v_mfma_i32_32x32x8i8 a[16+0:31+0], v[vgprValuA_X0_I0+0+0+0], v[vgprValuB_X0_I0+4+0+0], a[16:31]
/*  mfmaIndex:2  */
_ds_load_b128 v[vgprValuB_X4_I0+4:vgprValuB_X4_I0+4+3], v[vgprLocalReadAddrB] offset:2336 // L -> Reg lro=32 swapByteOffset=0 ti=32 vIdx=1 rIdx=0 oIdx=0 buffer=4 iui=0
_ds_load_b128 v[vgprValuB_X4_I0+8:vgprValuB_X4_I0+8+3], v[vgprLocalReadAddrB] offset:4640 // L -> Reg lro=32 swapByteOffset=0 ti=32 vIdx=2 rIdx=0 oIdx=0 buffer=4 iui=0
	;; [unrolled: 1-line block ×3, first 2 shown]
v_mfma_i32_32x32x8i8 a[32+0:47+0], v[vgprValuA_X0_I0+0+0+0], v[vgprValuB_X0_I0+8+0+0], a[32:47]
/*  mfmaIndex:3  */
_ds_load_b128 v[vgprValuB_X4_I0+16:vgprValuB_X4_I0+16+3], v[vgprLocalReadAddrB] offset:9248 // L -> Reg lro=32 swapByteOffset=0 ti=32 vIdx=4 rIdx=0 oIdx=0 buffer=4 iui=0
_ds_load_b128 v[vgprValuB_X4_I0+20:vgprValuB_X4_I0+20+3], v[vgprLocalReadAddrB] offset:11552 // L -> Reg lro=32 swapByteOffset=0 ti=32 vIdx=5 rIdx=0 oIdx=0 buffer=4 iui=0
	;; [unrolled: 1-line block ×3, first 2 shown]
v_mfma_i32_32x32x8i8 a[48+0:63+0], v[vgprValuA_X0_I0+0+0+0], v[vgprValuB_X0_I0+12+0+0], a[48:63]
/*  mfmaIndex:4  */
_ds_load_b128 v[vgprValuB_X4_I0+28:vgprValuB_X4_I0+28+3], v[vgprLocalReadAddrB] offset:16160 // L -> Reg lro=32 swapByteOffset=0 ti=32 vIdx=7 rIdx=0 oIdx=0 buffer=4 iui=0
/* localReadsVacancy: latencyLeft 9 */
_ds_load_u8 v[vgprValuA_X2_I0+0], v[vgprLocalReadAddrA] offset:1088 // L -> Reg lro=1088 swapByteOffset=0 ti=128 vIdx=0 rIdx=0 oIdx=0 buffer=2 iui=0
_ds_load_u8 v[vgprValuA_X3_I0+0], v[vgprLocalReadAddrA] offset:1632 // L -> Reg lro=1632 swapByteOffset=0 ti=128 vIdx=0 rIdx=0 oIdx=0 buffer=3 iui=0
_ds_load_u8 v[vgprValuA_X4_I0+0], v[vgprLocalReadAddrA] offset:4352 // L -> Reg lro=4352 swapByteOffset=0 ti=128 vIdx=0 rIdx=0 oIdx=0 buffer=4 iui=0
_ds_load_u8 v[vgprValuA_X5_I0+0], v[vgprLocalReadAddrA] offset:4896 // L -> Reg lro=4896 swapByteOffset=0 ti=128 vIdx=0 rIdx=0 oIdx=0 buffer=5 iui=0
v_mfma_i32_32x32x8i8 a[64+0:79+0], v[vgprValuA_X0_I0+0+0+0], v[vgprValuB_X0_I0+16+0+0], a[64:79]
/*  mfmaIndex:5  */
/* localReadsVacancy: latencyLeft 13 */
_ds_load_u8 v[vgprValuA_X6_I0+0], v[vgprLocalReadAddrA] offset:5440 // L -> Reg lro=5440 swapByteOffset=0 ti=128 vIdx=0 rIdx=0 oIdx=0 buffer=6 iui=0
_ds_load_u8 v[vgprValuA_X7_I0+0], v[vgprLocalReadAddrA] offset:5984 // L -> Reg lro=5984 swapByteOffset=0 ti=128 vIdx=0 rIdx=0 oIdx=0 buffer=7 iui=0
v_mfma_i32_32x32x8i8 a[80+0:95+0], v[vgprValuA_X0_I0+0+0+0], v[vgprValuB_X0_I0+20+0+0], a[80:95]
/*  mfmaIndex:6  */
/* localReadsVacancy: latencyLeft 13 */
v_mfma_i32_32x32x8i8 a[96+0:111+0], v[vgprValuA_X0_I0+0+0+0], v[vgprValuB_X0_I0+24+0+0], a[96:111]
/*  mfmaIndex:7  */
/* localReadsVacancy: latencyLeft 13 */
v_mfma_i32_32x32x8i8 a[112+0:127+0], v[vgprValuA_X0_I0+0+0+0], v[vgprValuB_X0_I0+28+0+0], a[112:127]
/* numPrefetchIter=0 */
/* dataAtIterA=-1 numReadsIterA=1 skipReadsIterA=1 readsPerIterA=4 */
/* dataAtIterB=-1 numReadsIterB=1 skipReadsIterB=1 readsPerIterB=8 */


/* iter 1 (last unrolled loop) */

/*  grEndMfmaIndex:0, lwStartMfmaIndex:56, lwEndMfmaIndex:56  */
/*  numMfmaForLR:5, barrierMfmaIndex:58 */
/*  mfmaIndex:8  */
_ds_load_u8 v107, v[vgprLocalReadAddrA] offset:1224 // L -> Reg lro=1088 swapByteOffset=0 ti=128 vIdx=0 rIdx=1 oIdx=0 buffer=2 iui=0
_ds_load_u8_d16_hi v108, v[vgprLocalReadAddrA] offset:1360 // L -> Reg lro=1088 swapByteOffset=0 ti=128 vIdx=0 rIdx=2 oIdx=0 buffer=2 iui=0
_ds_load_u8_d16_hi v109, v[vgprLocalReadAddrA] offset:1496 // L -> Reg lro=1088 swapByteOffset=0 ti=128 vIdx=0 rIdx=3 oIdx=0 buffer=2 iui=0
/* localReadsVacancy: latencyLeft 7 */
s_waitcnt lgkmcnt(9)                               // lgkmcnt=0 vmcnt=-1wait for prior local read local write old=1, new=4 newLW=0 newLR=3
/* pack scheduling: packAIdx:3, packBIdx:0 */
_v_lshl_or_b32 v[vgprValuA_X1_I0+0], v110, 0x8, v[vgprValuA_X1_I0+0] // pack two int8 Vgpr to one half Vgpr
_v_lshl_or_b32 v111, v112, 0x8, v111               // pack two int8 Vgpr to one half Vgpr
v_or_b32 v[vgprValuA_X1_I0+0], v[vgprValuA_X1_I0+0], v111 // pack two half Vgpr to one Vgpr
s_nop  1                                           // VALU packing writes to be consumed by matrix instruction
v_mfma_i32_32x32x8i8 a[0+0:15+0], v[vgprValuA_X1_I0+0+0+0], v[vgprValuB_X0_I0+0+1+0], a[0:15]
/*  mfmaIndex:9  */
/* localReadsVacancy: latencyLeft 13 */
v_mfma_i32_32x32x8i8 a[16+0:31+0], v[vgprValuA_X1_I0+0+0+0], v[vgprValuB_X0_I0+4+1+0], a[16:31]
/*  mfmaIndex:10  */
/* localReadsVacancy: latencyLeft 13 */
	;; [unrolled: 3-line block ×7, first 2 shown]
v_mfma_i32_32x32x8i8 a[112+0:127+0], v[vgprValuA_X1_I0+0+0+0], v[vgprValuB_X0_I0+28+1+0], a[112:127]
/* numPrefetchIter=0 */
/* dataAtIterA=0 numReadsIterA=2 skipReadsIterA=1 readsPerIterA=4 */
/* dataAtIterB=-1 numReadsIterB=1 skipReadsIterB=0 readsPerIterB=8 */


/* iter 2 (last unrolled loop) */

/*  grEndMfmaIndex:0, lwStartMfmaIndex:56, lwEndMfmaIndex:56  */
/*  numMfmaForLR:5, barrierMfmaIndex:58 */
/*  mfmaIndex:16  */
_ds_load_u8 v110, v[vgprLocalReadAddrA] offset:1768 // L -> Reg lro=1632 swapByteOffset=0 ti=128 vIdx=0 rIdx=1 oIdx=0 buffer=3 iui=0
_ds_load_u8_d16_hi v111, v[vgprLocalReadAddrA] offset:1904 // L -> Reg lro=1632 swapByteOffset=0 ti=128 vIdx=0 rIdx=2 oIdx=0 buffer=3 iui=0
_ds_load_u8_d16_hi v112, v[vgprLocalReadAddrA] offset:2040 // L -> Reg lro=1632 swapByteOffset=0 ti=128 vIdx=0 rIdx=3 oIdx=0 buffer=3 iui=0
/* localReadsVacancy: latencyLeft 7 */
s_waitcnt lgkmcnt(3)                               // lgkmcnt=0 vmcnt=-1wait for prior local read local write old=0, new=3 newLW=0 newLR=3
/* pack scheduling: packAIdx:3, packBIdx:0 */
_v_lshl_or_b32 v[vgprValuA_X2_I0+0], v107, 0x8, v[vgprValuA_X2_I0+0] // pack two int8 Vgpr to one half Vgpr
_v_lshl_or_b32 v108, v109, 0x8, v108               // pack two int8 Vgpr to one half Vgpr
v_or_b32 v[vgprValuA_X2_I0+0], v[vgprValuA_X2_I0+0], v108 // pack two half Vgpr to one Vgpr
s_nop  1                                           // VALU packing writes to be consumed by matrix instruction
v_mfma_i32_32x32x8i8 a[0+0:15+0], v[vgprValuA_X2_I0+0+0+0], v[vgprValuB_X0_I0+0+2+0], a[0:15]
/*  mfmaIndex:17  */
/* localReadsVacancy: latencyLeft 13 */
v_mfma_i32_32x32x8i8 a[16+0:31+0], v[vgprValuA_X2_I0+0+0+0], v[vgprValuB_X0_I0+4+2+0], a[16:31]
/*  mfmaIndex:18  */
/* localReadsVacancy: latencyLeft 13 */
	;; [unrolled: 3-line block ×7, first 2 shown]
v_mfma_i32_32x32x8i8 a[112+0:127+0], v[vgprValuA_X2_I0+0+0+0], v[vgprValuB_X0_I0+28+2+0], a[112:127]
/* numPrefetchIter=0 */
/* dataAtIterA=1 numReadsIterA=3 skipReadsIterA=1 readsPerIterA=4 */
/* dataAtIterB=-1 numReadsIterB=1 skipReadsIterB=0 readsPerIterB=8 */


/* iter 3 (last unrolled loop) */

/*  grEndMfmaIndex:0, lwStartMfmaIndex:56, lwEndMfmaIndex:56  */
/*  numMfmaForLR:5, barrierMfmaIndex:58 */
/*  mfmaIndex:24  */
_ds_load_u8 v107, v[vgprLocalReadAddrA] offset:4488 // L -> Reg lro=4352 swapByteOffset=0 ti=128 vIdx=0 rIdx=1 oIdx=0 buffer=4 iui=0
_ds_load_u8_d16_hi v108, v[vgprLocalReadAddrA] offset:4624 // L -> Reg lro=4352 swapByteOffset=0 ti=128 vIdx=0 rIdx=2 oIdx=0 buffer=4 iui=0
_ds_load_u8_d16_hi v109, v[vgprLocalReadAddrA] offset:4760 // L -> Reg lro=4352 swapByteOffset=0 ti=128 vIdx=0 rIdx=3 oIdx=0 buffer=4 iui=0
/* localReadsVacancy: latencyLeft 7 */
s_waitcnt lgkmcnt(3)                               // lgkmcnt=0 vmcnt=-1wait for prior local read local write old=0, new=3 newLW=0 newLR=3
/* pack scheduling: packAIdx:3, packBIdx:0 */
_v_lshl_or_b32 v[vgprValuA_X3_I0+0], v110, 0x8, v[vgprValuA_X3_I0+0] // pack two int8 Vgpr to one half Vgpr
_v_lshl_or_b32 v111, v112, 0x8, v111               // pack two int8 Vgpr to one half Vgpr
v_or_b32 v[vgprValuA_X3_I0+0], v[vgprValuA_X3_I0+0], v111 // pack two half Vgpr to one Vgpr
s_nop  1                                           // VALU packing writes to be consumed by matrix instruction
v_mfma_i32_32x32x8i8 a[0+0:15+0], v[vgprValuA_X3_I0+0+0+0], v[vgprValuB_X0_I0+0+3+0], a[0:15]
/*  mfmaIndex:25  */
/* localReadsVacancy: latencyLeft 13 */
v_mfma_i32_32x32x8i8 a[16+0:31+0], v[vgprValuA_X3_I0+0+0+0], v[vgprValuB_X0_I0+4+3+0], a[16:31]
/*  mfmaIndex:26  */
/* localReadsVacancy: latencyLeft 13 */
	;; [unrolled: 3-line block ×7, first 2 shown]
v_mfma_i32_32x32x8i8 a[112+0:127+0], v[vgprValuA_X3_I0+0+0+0], v[vgprValuB_X0_I0+28+3+0], a[112:127]
/* numPrefetchIter=0 */
/* dataAtIterA=2 numReadsIterA=4 skipReadsIterA=1 readsPerIterA=4 */
/* dataAtIterB=-1 numReadsIterB=1 skipReadsIterB=0 readsPerIterB=8 */


/* iter 4 (last unrolled loop) */

/*  grEndMfmaIndex:0, lwStartMfmaIndex:56, lwEndMfmaIndex:56  */
/*  numMfmaForLR:5, barrierMfmaIndex:58 */
/*  mfmaIndex:32  */
_ds_load_u8 v110, v[vgprLocalReadAddrA] offset:5032 // L -> Reg lro=4896 swapByteOffset=0 ti=128 vIdx=0 rIdx=1 oIdx=0 buffer=5 iui=0
_ds_load_u8_d16_hi v111, v[vgprLocalReadAddrA] offset:5168 // L -> Reg lro=4896 swapByteOffset=0 ti=128 vIdx=0 rIdx=2 oIdx=0 buffer=5 iui=0
_ds_load_u8_d16_hi v112, v[vgprLocalReadAddrA] offset:5304 // L -> Reg lro=4896 swapByteOffset=0 ti=128 vIdx=0 rIdx=3 oIdx=0 buffer=5 iui=0
/* localReadsVacancy: latencyLeft 7 */
s_waitcnt lgkmcnt(3)                               // lgkmcnt=0 vmcnt=-1wait for prior local read local write old=0, new=3 newLW=0 newLR=3
/* pack scheduling: packAIdx:3, packBIdx:0 */
_v_lshl_or_b32 v[vgprValuA_X4_I0+0], v107, 0x8, v[vgprValuA_X4_I0+0] // pack two int8 Vgpr to one half Vgpr
_v_lshl_or_b32 v108, v109, 0x8, v108               // pack two int8 Vgpr to one half Vgpr
v_or_b32 v[vgprValuA_X4_I0+0], v[vgprValuA_X4_I0+0], v108 // pack two half Vgpr to one Vgpr
s_nop  1                                           // VALU packing writes to be consumed by matrix instruction
v_mfma_i32_32x32x8i8 a[0+0:15+0], v[vgprValuA_X4_I0+0+0+0], v[vgprValuB_X4_I0+0+0+0], a[0:15]
/*  mfmaIndex:33  */
/* localReadsVacancy: latencyLeft 13 */
v_mfma_i32_32x32x8i8 a[16+0:31+0], v[vgprValuA_X4_I0+0+0+0], v[vgprValuB_X4_I0+4+0+0], a[16:31]
/*  mfmaIndex:34  */
/* localReadsVacancy: latencyLeft 13 */
	;; [unrolled: 3-line block ×7, first 2 shown]
v_mfma_i32_32x32x8i8 a[112+0:127+0], v[vgprValuA_X4_I0+0+0+0], v[vgprValuB_X4_I0+28+0+0], a[112:127]
/* numPrefetchIter=0 */
/* dataAtIterA=3 numReadsIterA=5 skipReadsIterA=1 readsPerIterA=4 */
/* dataAtIterB=0 numReadsIterB=1 skipReadsIterB=0 readsPerIterB=8 */


/* iter 5 (last unrolled loop) */

/*  grEndMfmaIndex:0, lwStartMfmaIndex:56, lwEndMfmaIndex:56  */
/*  numMfmaForLR:5, barrierMfmaIndex:58 */
/*  mfmaIndex:40  */
_ds_load_u8 v107, v[vgprLocalReadAddrA] offset:5576 // L -> Reg lro=5440 swapByteOffset=0 ti=128 vIdx=0 rIdx=1 oIdx=0 buffer=6 iui=0
_ds_load_u8_d16_hi v108, v[vgprLocalReadAddrA] offset:5712 // L -> Reg lro=5440 swapByteOffset=0 ti=128 vIdx=0 rIdx=2 oIdx=0 buffer=6 iui=0
_ds_load_u8_d16_hi v109, v[vgprLocalReadAddrA] offset:5848 // L -> Reg lro=5440 swapByteOffset=0 ti=128 vIdx=0 rIdx=3 oIdx=0 buffer=6 iui=0
/* localReadsVacancy: latencyLeft 7 */
s_waitcnt lgkmcnt(3)                               // lgkmcnt=0 vmcnt=-1wait for prior local read local write old=0, new=3 newLW=0 newLR=3
/* pack scheduling: packAIdx:3, packBIdx:0 */
_v_lshl_or_b32 v[vgprValuA_X5_I0+0], v110, 0x8, v[vgprValuA_X5_I0+0] // pack two int8 Vgpr to one half Vgpr
_v_lshl_or_b32 v111, v112, 0x8, v111               // pack two int8 Vgpr to one half Vgpr
v_or_b32 v[vgprValuA_X5_I0+0], v[vgprValuA_X5_I0+0], v111 // pack two half Vgpr to one Vgpr
s_nop  1                                           // VALU packing writes to be consumed by matrix instruction
v_mfma_i32_32x32x8i8 a[0+0:15+0], v[vgprValuA_X5_I0+0+0+0], v[vgprValuB_X4_I0+0+1+0], a[0:15]
/*  mfmaIndex:41  */
/* localReadsVacancy: latencyLeft 13 */
v_mfma_i32_32x32x8i8 a[16+0:31+0], v[vgprValuA_X5_I0+0+0+0], v[vgprValuB_X4_I0+4+1+0], a[16:31]
/*  mfmaIndex:42  */
/* localReadsVacancy: latencyLeft 13 */
	;; [unrolled: 3-line block ×7, first 2 shown]
v_mfma_i32_32x32x8i8 a[112+0:127+0], v[vgprValuA_X5_I0+0+0+0], v[vgprValuB_X4_I0+28+1+0], a[112:127]
/* numPrefetchIter=0 */
/* dataAtIterA=4 numReadsIterA=6 skipReadsIterA=1 readsPerIterA=4 */
/* dataAtIterB=0 numReadsIterB=1 skipReadsIterB=0 readsPerIterB=8 */


/* iter 6 (last unrolled loop) */

/*  grEndMfmaIndex:0, lwStartMfmaIndex:56, lwEndMfmaIndex:56  */
/*  numMfmaForLR:5, barrierMfmaIndex:58 */
/*  mfmaIndex:48  */
_ds_load_u8 v110, v[vgprLocalReadAddrA] offset:6120 // L -> Reg lro=5984 swapByteOffset=0 ti=128 vIdx=0 rIdx=1 oIdx=0 buffer=7 iui=0
_ds_load_u8_d16_hi v111, v[vgprLocalReadAddrA] offset:6256 // L -> Reg lro=5984 swapByteOffset=0 ti=128 vIdx=0 rIdx=2 oIdx=0 buffer=7 iui=0
_ds_load_u8_d16_hi v112, v[vgprLocalReadAddrA] offset:6392 // L -> Reg lro=5984 swapByteOffset=0 ti=128 vIdx=0 rIdx=3 oIdx=0 buffer=7 iui=0
/* localReadsVacancy: latencyLeft 7 */
s_waitcnt lgkmcnt(3)                               // lgkmcnt=0 vmcnt=-1wait for prior local read local write old=0, new=3 newLW=0 newLR=3
/* pack scheduling: packAIdx:3, packBIdx:0 */
_v_lshl_or_b32 v[vgprValuA_X6_I0+0], v107, 0x8, v[vgprValuA_X6_I0+0] // pack two int8 Vgpr to one half Vgpr
_v_lshl_or_b32 v108, v109, 0x8, v108               // pack two int8 Vgpr to one half Vgpr
v_or_b32 v[vgprValuA_X6_I0+0], v[vgprValuA_X6_I0+0], v108 // pack two half Vgpr to one Vgpr
s_nop  1                                           // VALU packing writes to be consumed by matrix instruction
v_mfma_i32_32x32x8i8 a[0+0:15+0], v[vgprValuA_X6_I0+0+0+0], v[vgprValuB_X4_I0+0+2+0], a[0:15]
/*  mfmaIndex:49  */
/* localReadsVacancy: latencyLeft 13 */
v_mfma_i32_32x32x8i8 a[16+0:31+0], v[vgprValuA_X6_I0+0+0+0], v[vgprValuB_X4_I0+4+2+0], a[16:31]
/*  mfmaIndex:50  */
/* localReadsVacancy: latencyLeft 13 */
	;; [unrolled: 3-line block ×7, first 2 shown]
/* 1 LDS buffer: read-sync-write */
s_waitcnt lgkmcnt(0)                               // 
s_barrier                                          // 
v_mfma_i32_32x32x8i8 a[112+0:127+0], v[vgprValuA_X6_I0+0+0+0], v[vgprValuB_X4_I0+28+2+0], a[112:127]
/* numPrefetchIter=0 */
/* dataAtIterA=5 numReadsIterA=7 skipReadsIterA=1 readsPerIterA=4 */
/* dataAtIterB=0 numReadsIterB=1 skipReadsIterB=0 readsPerIterB=8 */


/* iter 7 (last unrolled loop) */

/*  grEndMfmaIndex:0, lwStartMfmaIndex:56, lwEndMfmaIndex:56  */
/*  numMfmaForLR:5, barrierMfmaIndex:58 */
/*  mfmaIndex:56  */
s_waitcnt lgkmcnt(0)                               // lgkmcnt=0 vmcnt=-1wait for prior local read local write old=0, new=0 newLW=0 newLR=0
/* pack scheduling: packAIdx:3, packBIdx:0 */
_v_lshl_or_b32 v[vgprValuA_X7_I0+0], v110, 0x8, v[vgprValuA_X7_I0+0] // pack two int8 Vgpr to one half Vgpr
_v_lshl_or_b32 v111, v112, 0x8, v111               // pack two int8 Vgpr to one half Vgpr
v_or_b32 v[vgprValuA_X7_I0+0], v[vgprValuA_X7_I0+0], v111 // pack two half Vgpr to one Vgpr
s_nop  1                                           // VALU packing writes to be consumed by matrix instruction
v_mfma_i32_32x32x8i8 a[0+0:15+0], v[vgprValuA_X7_I0+0+0+0], v[vgprValuB_X4_I0+0+3+0], a[0:15]
/*  mfmaIndex:57  */
v_mfma_i32_32x32x8i8 a[16+0:31+0], v[vgprValuA_X7_I0+0+0+0], v[vgprValuB_X4_I0+4+3+0], a[16:31]
/*  mfmaIndex:58  */
	;; [unrolled: 2-line block ×7, first 2 shown]
v_mfma_i32_32x32x8i8 a[112+0:127+0], v[vgprValuA_X7_I0+0+0+0], v[vgprValuB_X4_I0+28+3+0], a[112:127]
/* numPrefetchIter=0 */
/* dataAtIterA=6 numReadsIterA=7 skipReadsIterA=0 readsPerIterA=4 */
/* dataAtIterB=0 numReadsIterB=1 skipReadsIterB=0 readsPerIterB=8 */

/* Stores for OptNLL */
Summation_End_OptNLL_16:
/* endSummation: add vgpr [0...104) to pool */

/* Mapping of Acc register -> C Vgpr register */
/* computeStoreVgprs */
v_lshrrev_b32 v4, 6, v[vgprSerial]                 // v4 = v[vgprSerial] / 64
v_lshrrev_b32 v1, 2, v4                            // v1 = v4 / 4
v_mul_lo_u32 v1, 0x20, v1                          // wave coordination offset 1
v_and_b32 v5, 31, v[vgprSerial]                    // v5 = v[vgprSerial] % 32
_v_add_lshl_u32 v1, v5, v1, 0                      // coordination 1 = vwb *(wave_id1 + tid1)
v_mul_lo_u32 v2, v1, s[sgprStrideC1J]              //  offset 1
v_mul_lo_u32 v3, v1, s[sgprStrideD1J]              //  offset 1
v_and_b32 v0, 63, v[vgprSerial]                    // v0 = v[vgprSerial] % 64
v_lshrrev_b32 v0, 5, v0                            // v0 = v0 / 32
v_lshlrev_b32 v0, 0x2, v0                          // thread0 * continuous_output
v_and_b32 v5, 3, v4                                // v5 = v4 % 4
v_mul_lo_u32 v5, 0x20, v5                          // wave coordination offset 0
_v_add_lshl_u32 v0, v5, v0, 0                      // coordination 0 = vwa *(wave_id0 + tid0)
s_mul_i32 s53, 128, s[sgprWorkGroup0]              // wgp0 * MT0
_v_add_u32 v0, s53, v0                             // coord 0 = (tid0/MI_m)*4 + waveG0*MIB_m + MT0*SG0
s_mul_i32 s53, 256, s[sgprWorkGroup1]              // wgp1 * MT1
_v_add_u32 v1, s53, v1                             // coord 1 = (tid0%MI_m) + waveG1*MIB_n + MT1*SG1
/* Store Remap Local Write address */
v_lshrrev_b32 v5, 8, v[vgprSerial]                 // v5 = v[vgprSerial] / 256
v_and_b32 v4, 255, v[vgprSerial]                   // v4 = v[vgprSerial] % 256
v_mul_lo_u32 v13, 0x20, v5                         // coord1 offset of LDS for each Wave
v_and_b32 v5, 0x1f, v[vgprSerial]                  // coord1 offset of LDS for each thread
_v_add_u32 v5, v13, v5                             // coord1 offset in MacroTile
v_mov_b32 v11, 0x84                                // lds stride = MT0 + PAD
v_mul_lo_u32 v9, v5, v11                           // lds coord1 offset = Col-id* lds stride
v_lshrrev_b32 v10, 6, v4                           // v10 = v4 / 64
v_and_b32 v4, 63, v4                               // v4 = v4 % 64
v_lshrrev_b32 v12, 0x5, v4                         // tid / matrixInstN
v_lshlrev_b32 v12, 0x2, v12                        // lds coord0 offset *= 4 (each thread hold 4 element)
v_mad_u32_u24 v12, 32, v10, v12                    // coord0 += waveCoord0 * wave M shape(blockM*MiM)
_v_add_lshl_u32 v7, v9, v12, 0x2                   // local write C address

/* Store Remap Local Read address */
v_lshrrev_b32 v5, 6, v[vgprSerial]                 // v5 = v[vgprSerial] / 64
v_and_b32 v4, 63, v[vgprSerial]                    // v4 = v[vgprSerial] % 64
v_mul_lo_u32 v13, 0x8, v5                          // coord1 offset of LDS for each Wave
v_lshrrev_b32 v10, 0x5, v4                         // tid / nThreadPerCol
_v_add_u32 v6, v13, v10                            // coord1 offset in MacroTile
v_mul_lo_u32 v9, v6, v11                           // lds coord1 offset = Col-id* lds stride
v_and_b32 v12, 0x1f, v4                            // coord0 offset of LDS for each thread
v_lshlrev_b32 v12, 0x2, v12                        // lds coord0 offset *= gwvw (each thread hold gwvw element)
_v_add_lshl_u32 v8, v9, v12, 0x2                   // local read C address

/* Store Remap global write coord0 and coord1 */
v_lshrrev_b32 v5, 8, v[vgprSerial]                 // v5 = v[vgprSerial] / 256
v_and_b32 v4, 255, v[vgprSerial]                   // v4 = v[vgprSerial] % 256
v_mul_lo_u32 v13, 0x20, v5                         // coord1 offset of global memory for each Wave
v_lshrrev_b32 v5, 6, v4                            // v5 = v4 / 64
v_and_b32 v4, 63, v4                               // v4 = v4 % 64
v_mad_u32_u24 v13, 8, v5, v13                      // waveCoord1 += waveCoord0 * MiN / WaveGroupM
v_lshrrev_b32 v10, 0x5, v4                         // tid / nThreadPerCol
_v_add_u32 v6, v13, v10                            // coord1 offset in MacroTile
s_mul_i32 s54, 0x80, s[sgprWorkGroup0]             // s54 = wg0*MT0
_v_add_co_u32 v4, vcc, s54, v12                    // coord0 = coord0 + wg0 * MT0
s_mul_i32 s55, MT1, s[sgprWorkGroup1]              // <- wg1*MT1
_v_add_co_u32 v5, vcc, s55, v6                     // coord1 = tid1*VW + wg1*MT1

s_waitcnt lgkmcnt(0) & vmcnt(0)                    // force waitcnt0
s_barrier //StoreRemap Start
GW_B0_E0_19:

/* edge=0, allocate 2 sgpr. perBatchTmpS=2 perBatchMaskS=0 perElementMaskS=0 elementsPerBatch=4 */
/* optSingleColVgpr=1 optSharedColVgpr=0 optSGPRUsage=BufferLoad_Mask optSrdIncForRow=1 */

/******************************************/
/* Global Write Batch #0 (d1,d0,vc1,vc0) = */
/*    (0,0,0,0:vw4); (0,1,0,0:vw4); (0,2,0,0:vw4); (0,3,0,0:vw4) */
/******************************************/

/* calc coords, apply mask, and issue loads (if necessary) */
/* (d1,vc1,d0,vc0)=(0,0,0,0) */
/* (d1,vc1,d0,vc0)=(0,0,1,0) */
/* (d1,vc1,d0,vc0)=(0,0,2,0) */
/* (d1,vc1,d0,vc0)=(0,0,3,0) */
_v_add_lshl_u32 v9, v3, v0, 0x2                    // optSingleColVgpr scaleToBpe: sharedAddrVgpr <- cinRowPtr + coord0, scaled by BPE. BSHERE:coord0=0, coord0Vgpr=0
v_accvgpr_read_b32 v[vgprValuC+16], acc0 // copy acc to vreg[0]
v_accvgpr_read_b32 v[vgprValuC+17], acc1 // copy acc to vreg[1]
v_accvgpr_read_b32 v[vgprValuC+18], acc2 // copy acc to vreg[2]
v_accvgpr_read_b32 v[vgprValuC+19], acc3 // copy acc to vreg[3]
v_accvgpr_read_b32 v[vgprValuC+20], acc4 // copy acc to vreg[4]
v_accvgpr_read_b32 v[vgprValuC+21], acc5 // copy acc to vreg[5]
v_accvgpr_read_b32 v[vgprValuC+22], acc6 // copy acc to vreg[6]
v_accvgpr_read_b32 v[vgprValuC+23], acc7 // copy acc to vreg[7]
v_accvgpr_read_b32 v[vgprValuC+24], acc8 // copy acc to vreg[8]
v_accvgpr_read_b32 v[vgprValuC+25], acc9 // copy acc to vreg[9]
v_accvgpr_read_b32 v[vgprValuC+26], acc10 // copy acc to vreg[10]
v_accvgpr_read_b32 v[vgprValuC+27], acc11 // copy acc to vreg[11]
v_accvgpr_read_b32 v[vgprValuC+28], acc12 // copy acc to vreg[12]
v_accvgpr_read_b32 v[vgprValuC+29], acc13 // copy acc to vreg[13]
v_accvgpr_read_b32 v[vgprValuC+30], acc14 // copy acc to vreg[14]
v_accvgpr_read_b32 v[vgprValuC+31], acc15 // copy acc to vreg[15]
s_nop 1                                            // 2 wait states required before reading vgpr

/* apply mask, calc new C and issue writes */
_ds_store_b128 v7, v[16:19], offset:0              // storeRemap lw
_ds_store_b128 v7, v[20:23], offset:32             // storeRemap lw
_ds_store_b128 v7, v[24:27], offset:64             // storeRemap lw
_ds_store_b128 v7, v[28:31], offset:96             // storeRemap lw

/* Handle local read and global write */
s_waitcnt lgkmcnt(0)                               // wait for LDS write
s_barrier //wait all lds write finished

_ds_load_b128 v[16:19], v8, offset:0               // storeRemap lr
_ds_load_b128 v[20:23], v8, offset:1056            // storeRemap lr
_ds_load_b128 v[24:27], v8, offset:2112            // storeRemap lr
	;; [unrolled: 1-line block ×3, first 2 shown]

v_mov_b32 v13, v6                                  // coord1
v_mul_lo_u32 v13, v13, s[sgprStrideD1J]            // coord1 offset =  coord1 * StrideD
_v_add_lshl_u32 v13, v13, v4, 0x2                  // global write D address
s_waitcnt lgkmcnt(3)                               // wait for LDS read
_buffer_store_b128 v[16:19], v13, s[sgprSrdD:sgprSrdD+3], 0, offen, offset:0 // store D
_v_add_u32 v13, v6, 2                              // coord1 += nColPerLoad
v_mul_lo_u32 v13, v13, s[sgprStrideD1J]            // coord1 offset =  coord1 * StrideD
_v_add_lshl_u32 v13, v13, v4, 0x2                  // global write D address
s_waitcnt lgkmcnt(2)                               // wait for LDS read
_buffer_store_b128 v[20:23], v13, s[sgprSrdD:sgprSrdD+3], 0, offen, offset:0 // store D
_v_add_u32 v13, v6, 4                              // coord1 += nColPerLoad
	;; [unrolled: 5-line block ×3, first 2 shown]
v_mul_lo_u32 v13, v13, s[sgprStrideD1J]            // coord1 offset =  coord1 * StrideD
_v_add_lshl_u32 v13, v13, v4, 0x2                  // global write D address
s_waitcnt lgkmcnt(0)                               // wait for LDS read
_buffer_store_b128 v[28:31], v13, s[sgprSrdD:sgprSrdD+3], 0, offen, offset:0 // store D

s_barrier //wait all lds read finished
s_nop 0                                            // 1 wait state required when next inst writes vgprs held by previous dwordx4 store inst
/* optSingleColVgpr=1 optSharedColVgpr=0 optSGPRUsage=BufferLoad_Mask optSrdIncForRow=1 */

/******************************************/
/* Global Write Batch #1 (d1,d0,vc1,vc0) = */
/*    (1,0,0,0:vw4); (1,1,0,0:vw4); (1,2,0,0:vw4); (1,3,0,0:vw4) */
/******************************************/

/* calc coords, apply mask, and issue loads (if necessary) */
/* (d1,vc1,d0,vc0)=(1,0,0,0) */
/* (d1,vc1,d0,vc0)=(1,0,1,0) */
	;; [unrolled: 1-line block ×4, first 2 shown]
v_accvgpr_read_b32 v[vgprValuC+16], acc16 // copy acc to vreg[16]
v_accvgpr_read_b32 v[vgprValuC+17], acc17 // copy acc to vreg[17]
v_accvgpr_read_b32 v[vgprValuC+18], acc18 // copy acc to vreg[18]
v_accvgpr_read_b32 v[vgprValuC+19], acc19 // copy acc to vreg[19]
v_accvgpr_read_b32 v[vgprValuC+20], acc20 // copy acc to vreg[20]
v_accvgpr_read_b32 v[vgprValuC+21], acc21 // copy acc to vreg[21]
v_accvgpr_read_b32 v[vgprValuC+22], acc22 // copy acc to vreg[22]
v_accvgpr_read_b32 v[vgprValuC+23], acc23 // copy acc to vreg[23]
v_accvgpr_read_b32 v[vgprValuC+24], acc24 // copy acc to vreg[24]
v_accvgpr_read_b32 v[vgprValuC+25], acc25 // copy acc to vreg[25]
v_accvgpr_read_b32 v[vgprValuC+26], acc26 // copy acc to vreg[26]
v_accvgpr_read_b32 v[vgprValuC+27], acc27 // copy acc to vreg[27]
v_accvgpr_read_b32 v[vgprValuC+28], acc28 // copy acc to vreg[28]
v_accvgpr_read_b32 v[vgprValuC+29], acc29 // copy acc to vreg[29]
v_accvgpr_read_b32 v[vgprValuC+30], acc30 // copy acc to vreg[30]
v_accvgpr_read_b32 v[vgprValuC+31], acc31 // copy acc to vreg[31]
s_nop 1                                            // 2 wait states required before reading vgpr

/* apply mask, calc new C and issue writes */

/* StoreRemap: shift coord1 address */
s_mul_i32 s54, s[sgprStrideD1J], 128               // scale StrideD *= numRows(32) * bpe
s_add_u32  s[sgprSrdD+0], s[sgprSrdD+0], s54       // incToNextRow: gra SRD += inc(lower)
s_addc_u32  s[sgprSrdD+1], s[sgprSrdD+1], 0        // incToNextRow: gra SRD += inc(upper)
v_mov_b32 v10, 32                                  // set shift rows
_v_add_u32 v5, v5, v10                             // shift storeRemap coord1
_ds_store_b128 v7, v[16:19], offset:0              // storeRemap lw
_ds_store_b128 v7, v[20:23], offset:32             // storeRemap lw
_ds_store_b128 v7, v[24:27], offset:64             // storeRemap lw
	;; [unrolled: 1-line block ×3, first 2 shown]

/* Handle local read and global write */
s_waitcnt lgkmcnt(0)                               // wait for LDS write
s_barrier //wait all lds write finished

_ds_load_b128 v[16:19], v8, offset:0               // storeRemap lr
_ds_load_b128 v[20:23], v8, offset:1056            // storeRemap lr
_ds_load_b128 v[24:27], v8, offset:2112            // storeRemap lr
	;; [unrolled: 1-line block ×3, first 2 shown]

v_mov_b32 v13, v6                                  // coord1
v_mul_lo_u32 v13, v13, s[sgprStrideD1J]            // coord1 offset =  coord1 * StrideD
_v_add_lshl_u32 v13, v13, v4, 0x2                  // global write D address
s_waitcnt lgkmcnt(3)                               // wait for LDS read
_buffer_store_b128 v[16:19], v13, s[sgprSrdD:sgprSrdD+3], 0, offen, offset:0 // store D
_v_add_u32 v13, v6, 2                              // coord1 += nColPerLoad
v_mul_lo_u32 v13, v13, s[sgprStrideD1J]            // coord1 offset =  coord1 * StrideD
_v_add_lshl_u32 v13, v13, v4, 0x2                  // global write D address
s_waitcnt lgkmcnt(2)                               // wait for LDS read
_buffer_store_b128 v[20:23], v13, s[sgprSrdD:sgprSrdD+3], 0, offen, offset:0 // store D
_v_add_u32 v13, v6, 4                              // coord1 += nColPerLoad
	;; [unrolled: 5-line block ×3, first 2 shown]
v_mul_lo_u32 v13, v13, s[sgprStrideD1J]            // coord1 offset =  coord1 * StrideD
_v_add_lshl_u32 v13, v13, v4, 0x2                  // global write D address
s_waitcnt lgkmcnt(0)                               // wait for LDS read
_buffer_store_b128 v[28:31], v13, s[sgprSrdD:sgprSrdD+3], 0, offen, offset:0 // store D

s_barrier //wait all lds read finished
s_nop 0                                            // 1 wait state required when next inst writes vgprs held by previous dwordx4 store inst
/* optSingleColVgpr=1 optSharedColVgpr=0 optSGPRUsage=BufferLoad_Mask optSrdIncForRow=1 */

/******************************************/
/* Global Write Batch #2 (d1,d0,vc1,vc0) = */
/*    (2,0,0,0:vw4); (2,1,0,0:vw4); (2,2,0,0:vw4); (2,3,0,0:vw4) */
/******************************************/

/* calc coords, apply mask, and issue loads (if necessary) */
/* (d1,vc1,d0,vc0)=(2,0,0,0) */
/* (d1,vc1,d0,vc0)=(2,0,1,0) */
	;; [unrolled: 1-line block ×4, first 2 shown]
v_accvgpr_read_b32 v[vgprValuC+16], acc32 // copy acc to vreg[32]
v_accvgpr_read_b32 v[vgprValuC+17], acc33 // copy acc to vreg[33]
v_accvgpr_read_b32 v[vgprValuC+18], acc34 // copy acc to vreg[34]
v_accvgpr_read_b32 v[vgprValuC+19], acc35 // copy acc to vreg[35]
v_accvgpr_read_b32 v[vgprValuC+20], acc36 // copy acc to vreg[36]
v_accvgpr_read_b32 v[vgprValuC+21], acc37 // copy acc to vreg[37]
v_accvgpr_read_b32 v[vgprValuC+22], acc38 // copy acc to vreg[38]
v_accvgpr_read_b32 v[vgprValuC+23], acc39 // copy acc to vreg[39]
v_accvgpr_read_b32 v[vgprValuC+24], acc40 // copy acc to vreg[40]
v_accvgpr_read_b32 v[vgprValuC+25], acc41 // copy acc to vreg[41]
v_accvgpr_read_b32 v[vgprValuC+26], acc42 // copy acc to vreg[42]
v_accvgpr_read_b32 v[vgprValuC+27], acc43 // copy acc to vreg[43]
v_accvgpr_read_b32 v[vgprValuC+28], acc44 // copy acc to vreg[44]
v_accvgpr_read_b32 v[vgprValuC+29], acc45 // copy acc to vreg[45]
v_accvgpr_read_b32 v[vgprValuC+30], acc46 // copy acc to vreg[46]
v_accvgpr_read_b32 v[vgprValuC+31], acc47 // copy acc to vreg[47]
s_nop 1                                            // 2 wait states required before reading vgpr

/* apply mask, calc new C and issue writes */

/* StoreRemap: shift coord1 address */
s_mul_i32 s54, s[sgprStrideD1J], 128               // scale StrideD *= numRows(32) * bpe
s_add_u32  s[sgprSrdD+0], s[sgprSrdD+0], s54       // incToNextRow: gra SRD += inc(lower)
s_addc_u32  s[sgprSrdD+1], s[sgprSrdD+1], 0        // incToNextRow: gra SRD += inc(upper)
v_mov_b32 v10, 32                                  // set shift rows
_v_add_u32 v5, v5, v10                             // shift storeRemap coord1
_ds_store_b128 v7, v[16:19], offset:0              // storeRemap lw
_ds_store_b128 v7, v[20:23], offset:32             // storeRemap lw
_ds_store_b128 v7, v[24:27], offset:64             // storeRemap lw
	;; [unrolled: 1-line block ×3, first 2 shown]

/* Handle local read and global write */
s_waitcnt lgkmcnt(0)                               // wait for LDS write
s_barrier //wait all lds write finished

_ds_load_b128 v[16:19], v8, offset:0               // storeRemap lr
_ds_load_b128 v[20:23], v8, offset:1056            // storeRemap lr
_ds_load_b128 v[24:27], v8, offset:2112            // storeRemap lr
	;; [unrolled: 1-line block ×3, first 2 shown]

v_mov_b32 v13, v6                                  // coord1
v_mul_lo_u32 v13, v13, s[sgprStrideD1J]            // coord1 offset =  coord1 * StrideD
_v_add_lshl_u32 v13, v13, v4, 0x2                  // global write D address
s_waitcnt lgkmcnt(3)                               // wait for LDS read
_buffer_store_b128 v[16:19], v13, s[sgprSrdD:sgprSrdD+3], 0, offen, offset:0 // store D
_v_add_u32 v13, v6, 2                              // coord1 += nColPerLoad
v_mul_lo_u32 v13, v13, s[sgprStrideD1J]            // coord1 offset =  coord1 * StrideD
_v_add_lshl_u32 v13, v13, v4, 0x2                  // global write D address
s_waitcnt lgkmcnt(2)                               // wait for LDS read
_buffer_store_b128 v[20:23], v13, s[sgprSrdD:sgprSrdD+3], 0, offen, offset:0 // store D
_v_add_u32 v13, v6, 4                              // coord1 += nColPerLoad
	;; [unrolled: 5-line block ×3, first 2 shown]
v_mul_lo_u32 v13, v13, s[sgprStrideD1J]            // coord1 offset =  coord1 * StrideD
_v_add_lshl_u32 v13, v13, v4, 0x2                  // global write D address
s_waitcnt lgkmcnt(0)                               // wait for LDS read
_buffer_store_b128 v[28:31], v13, s[sgprSrdD:sgprSrdD+3], 0, offen, offset:0 // store D

s_barrier //wait all lds read finished
s_nop 0                                            // 1 wait state required when next inst writes vgprs held by previous dwordx4 store inst
/* optSingleColVgpr=1 optSharedColVgpr=0 optSGPRUsage=BufferLoad_Mask optSrdIncForRow=1 */

/******************************************/
/* Global Write Batch #3 (d1,d0,vc1,vc0) = */
/*    (3,0,0,0:vw4); (3,1,0,0:vw4); (3,2,0,0:vw4); (3,3,0,0:vw4) */
/******************************************/

/* calc coords, apply mask, and issue loads (if necessary) */
/* (d1,vc1,d0,vc0)=(3,0,0,0) */
/* (d1,vc1,d0,vc0)=(3,0,1,0) */
/* (d1,vc1,d0,vc0)=(3,0,2,0) */
/* (d1,vc1,d0,vc0)=(3,0,3,0) */
v_accvgpr_read_b32 v[vgprValuC+16], acc48 // copy acc to vreg[48]
v_accvgpr_read_b32 v[vgprValuC+17], acc49 // copy acc to vreg[49]
v_accvgpr_read_b32 v[vgprValuC+18], acc50 // copy acc to vreg[50]
v_accvgpr_read_b32 v[vgprValuC+19], acc51 // copy acc to vreg[51]
v_accvgpr_read_b32 v[vgprValuC+20], acc52 // copy acc to vreg[52]
v_accvgpr_read_b32 v[vgprValuC+21], acc53 // copy acc to vreg[53]
v_accvgpr_read_b32 v[vgprValuC+22], acc54 // copy acc to vreg[54]
v_accvgpr_read_b32 v[vgprValuC+23], acc55 // copy acc to vreg[55]
v_accvgpr_read_b32 v[vgprValuC+24], acc56 // copy acc to vreg[56]
v_accvgpr_read_b32 v[vgprValuC+25], acc57 // copy acc to vreg[57]
v_accvgpr_read_b32 v[vgprValuC+26], acc58 // copy acc to vreg[58]
v_accvgpr_read_b32 v[vgprValuC+27], acc59 // copy acc to vreg[59]
v_accvgpr_read_b32 v[vgprValuC+28], acc60 // copy acc to vreg[60]
v_accvgpr_read_b32 v[vgprValuC+29], acc61 // copy acc to vreg[61]
v_accvgpr_read_b32 v[vgprValuC+30], acc62 // copy acc to vreg[62]
v_accvgpr_read_b32 v[vgprValuC+31], acc63 // copy acc to vreg[63]
s_nop 1                                            // 2 wait states required before reading vgpr

/* apply mask, calc new C and issue writes */

/* StoreRemap: shift coord1 address */
s_mul_i32 s54, s[sgprStrideD1J], 128               // scale StrideD *= numRows(32) * bpe
s_add_u32  s[sgprSrdD+0], s[sgprSrdD+0], s54       // incToNextRow: gra SRD += inc(lower)
s_addc_u32  s[sgprSrdD+1], s[sgprSrdD+1], 0        // incToNextRow: gra SRD += inc(upper)
v_mov_b32 v10, 32                                  // set shift rows
_v_add_u32 v5, v5, v10                             // shift storeRemap coord1
_ds_store_b128 v7, v[16:19], offset:0              // storeRemap lw
_ds_store_b128 v7, v[20:23], offset:32             // storeRemap lw
_ds_store_b128 v7, v[24:27], offset:64             // storeRemap lw
_ds_store_b128 v7, v[28:31], offset:96             // storeRemap lw

/* Handle local read and global write */
s_waitcnt lgkmcnt(0)                               // wait for LDS write
s_barrier //wait all lds write finished

_ds_load_b128 v[16:19], v8, offset:0               // storeRemap lr
_ds_load_b128 v[20:23], v8, offset:1056            // storeRemap lr
_ds_load_b128 v[24:27], v8, offset:2112            // storeRemap lr
	;; [unrolled: 1-line block ×3, first 2 shown]

v_mov_b32 v13, v6                                  // coord1
v_mul_lo_u32 v13, v13, s[sgprStrideD1J]            // coord1 offset =  coord1 * StrideD
_v_add_lshl_u32 v13, v13, v4, 0x2                  // global write D address
s_waitcnt lgkmcnt(3)                               // wait for LDS read
_buffer_store_b128 v[16:19], v13, s[sgprSrdD:sgprSrdD+3], 0, offen, offset:0 // store D
_v_add_u32 v13, v6, 2                              // coord1 += nColPerLoad
v_mul_lo_u32 v13, v13, s[sgprStrideD1J]            // coord1 offset =  coord1 * StrideD
_v_add_lshl_u32 v13, v13, v4, 0x2                  // global write D address
s_waitcnt lgkmcnt(2)                               // wait for LDS read
_buffer_store_b128 v[20:23], v13, s[sgprSrdD:sgprSrdD+3], 0, offen, offset:0 // store D
_v_add_u32 v13, v6, 4                              // coord1 += nColPerLoad
	;; [unrolled: 5-line block ×3, first 2 shown]
v_mul_lo_u32 v13, v13, s[sgprStrideD1J]            // coord1 offset =  coord1 * StrideD
_v_add_lshl_u32 v13, v13, v4, 0x2                  // global write D address
s_waitcnt lgkmcnt(0)                               // wait for LDS read
_buffer_store_b128 v[28:31], v13, s[sgprSrdD:sgprSrdD+3], 0, offen, offset:0 // store D

s_barrier //wait all lds read finished
s_nop 0                                            // 1 wait state required when next inst writes vgprs held by previous dwordx4 store inst
/* optSingleColVgpr=1 optSharedColVgpr=0 optSGPRUsage=BufferLoad_Mask optSrdIncForRow=1 */

/******************************************/
/* Global Write Batch #4 (d1,d0,vc1,vc0) = */
/*    (4,0,0,0:vw4); (4,1,0,0:vw4); (4,2,0,0:vw4); (4,3,0,0:vw4) */
/******************************************/

/* calc coords, apply mask, and issue loads (if necessary) */
/* (d1,vc1,d0,vc0)=(4,0,0,0) */
/* (d1,vc1,d0,vc0)=(4,0,1,0) */
	;; [unrolled: 1-line block ×4, first 2 shown]
v_accvgpr_read_b32 v[vgprValuC+16], acc64 // copy acc to vreg[64]
v_accvgpr_read_b32 v[vgprValuC+17], acc65 // copy acc to vreg[65]
v_accvgpr_read_b32 v[vgprValuC+18], acc66 // copy acc to vreg[66]
v_accvgpr_read_b32 v[vgprValuC+19], acc67 // copy acc to vreg[67]
v_accvgpr_read_b32 v[vgprValuC+20], acc68 // copy acc to vreg[68]
v_accvgpr_read_b32 v[vgprValuC+21], acc69 // copy acc to vreg[69]
v_accvgpr_read_b32 v[vgprValuC+22], acc70 // copy acc to vreg[70]
v_accvgpr_read_b32 v[vgprValuC+23], acc71 // copy acc to vreg[71]
v_accvgpr_read_b32 v[vgprValuC+24], acc72 // copy acc to vreg[72]
v_accvgpr_read_b32 v[vgprValuC+25], acc73 // copy acc to vreg[73]
v_accvgpr_read_b32 v[vgprValuC+26], acc74 // copy acc to vreg[74]
v_accvgpr_read_b32 v[vgprValuC+27], acc75 // copy acc to vreg[75]
v_accvgpr_read_b32 v[vgprValuC+28], acc76 // copy acc to vreg[76]
v_accvgpr_read_b32 v[vgprValuC+29], acc77 // copy acc to vreg[77]
v_accvgpr_read_b32 v[vgprValuC+30], acc78 // copy acc to vreg[78]
v_accvgpr_read_b32 v[vgprValuC+31], acc79 // copy acc to vreg[79]
s_nop 1                                            // 2 wait states required before reading vgpr

/* apply mask, calc new C and issue writes */

/* StoreRemap: shift coord1 address */
s_mul_i32 s54, s[sgprStrideD1J], 128               // scale StrideD *= numRows(32) * bpe
s_add_u32  s[sgprSrdD+0], s[sgprSrdD+0], s54       // incToNextRow: gra SRD += inc(lower)
s_addc_u32  s[sgprSrdD+1], s[sgprSrdD+1], 0        // incToNextRow: gra SRD += inc(upper)
v_mov_b32 v10, 32                                  // set shift rows
_v_add_u32 v5, v5, v10                             // shift storeRemap coord1
_ds_store_b128 v7, v[16:19], offset:0              // storeRemap lw
_ds_store_b128 v7, v[20:23], offset:32             // storeRemap lw
_ds_store_b128 v7, v[24:27], offset:64             // storeRemap lw
	;; [unrolled: 1-line block ×3, first 2 shown]

/* Handle local read and global write */
s_waitcnt lgkmcnt(0)                               // wait for LDS write
s_barrier //wait all lds write finished

_ds_load_b128 v[16:19], v8, offset:0               // storeRemap lr
_ds_load_b128 v[20:23], v8, offset:1056            // storeRemap lr
_ds_load_b128 v[24:27], v8, offset:2112            // storeRemap lr
	;; [unrolled: 1-line block ×3, first 2 shown]

v_mov_b32 v13, v6                                  // coord1
v_mul_lo_u32 v13, v13, s[sgprStrideD1J]            // coord1 offset =  coord1 * StrideD
_v_add_lshl_u32 v13, v13, v4, 0x2                  // global write D address
s_waitcnt lgkmcnt(3)                               // wait for LDS read
_buffer_store_b128 v[16:19], v13, s[sgprSrdD:sgprSrdD+3], 0, offen, offset:0 // store D
_v_add_u32 v13, v6, 2                              // coord1 += nColPerLoad
v_mul_lo_u32 v13, v13, s[sgprStrideD1J]            // coord1 offset =  coord1 * StrideD
_v_add_lshl_u32 v13, v13, v4, 0x2                  // global write D address
s_waitcnt lgkmcnt(2)                               // wait for LDS read
_buffer_store_b128 v[20:23], v13, s[sgprSrdD:sgprSrdD+3], 0, offen, offset:0 // store D
_v_add_u32 v13, v6, 4                              // coord1 += nColPerLoad
	;; [unrolled: 5-line block ×3, first 2 shown]
v_mul_lo_u32 v13, v13, s[sgprStrideD1J]            // coord1 offset =  coord1 * StrideD
_v_add_lshl_u32 v13, v13, v4, 0x2                  // global write D address
s_waitcnt lgkmcnt(0)                               // wait for LDS read
_buffer_store_b128 v[28:31], v13, s[sgprSrdD:sgprSrdD+3], 0, offen, offset:0 // store D

s_barrier //wait all lds read finished
s_nop 0                                            // 1 wait state required when next inst writes vgprs held by previous dwordx4 store inst
/* optSingleColVgpr=1 optSharedColVgpr=0 optSGPRUsage=BufferLoad_Mask optSrdIncForRow=1 */

/******************************************/
/* Global Write Batch #5 (d1,d0,vc1,vc0) = */
/*    (5,0,0,0:vw4); (5,1,0,0:vw4); (5,2,0,0:vw4); (5,3,0,0:vw4) */
/******************************************/

/* calc coords, apply mask, and issue loads (if necessary) */
/* (d1,vc1,d0,vc0)=(5,0,0,0) */
/* (d1,vc1,d0,vc0)=(5,0,1,0) */
	;; [unrolled: 1-line block ×4, first 2 shown]
v_accvgpr_read_b32 v[vgprValuC+16], acc80 // copy acc to vreg[80]
v_accvgpr_read_b32 v[vgprValuC+17], acc81 // copy acc to vreg[81]
v_accvgpr_read_b32 v[vgprValuC+18], acc82 // copy acc to vreg[82]
v_accvgpr_read_b32 v[vgprValuC+19], acc83 // copy acc to vreg[83]
v_accvgpr_read_b32 v[vgprValuC+20], acc84 // copy acc to vreg[84]
v_accvgpr_read_b32 v[vgprValuC+21], acc85 // copy acc to vreg[85]
v_accvgpr_read_b32 v[vgprValuC+22], acc86 // copy acc to vreg[86]
v_accvgpr_read_b32 v[vgprValuC+23], acc87 // copy acc to vreg[87]
v_accvgpr_read_b32 v[vgprValuC+24], acc88 // copy acc to vreg[88]
v_accvgpr_read_b32 v[vgprValuC+25], acc89 // copy acc to vreg[89]
v_accvgpr_read_b32 v[vgprValuC+26], acc90 // copy acc to vreg[90]
v_accvgpr_read_b32 v[vgprValuC+27], acc91 // copy acc to vreg[91]
v_accvgpr_read_b32 v[vgprValuC+28], acc92 // copy acc to vreg[92]
v_accvgpr_read_b32 v[vgprValuC+29], acc93 // copy acc to vreg[93]
v_accvgpr_read_b32 v[vgprValuC+30], acc94 // copy acc to vreg[94]
v_accvgpr_read_b32 v[vgprValuC+31], acc95 // copy acc to vreg[95]
s_nop 1                                            // 2 wait states required before reading vgpr

/* apply mask, calc new C and issue writes */

/* StoreRemap: shift coord1 address */
s_mul_i32 s54, s[sgprStrideD1J], 128               // scale StrideD *= numRows(32) * bpe
s_add_u32  s[sgprSrdD+0], s[sgprSrdD+0], s54       // incToNextRow: gra SRD += inc(lower)
s_addc_u32  s[sgprSrdD+1], s[sgprSrdD+1], 0        // incToNextRow: gra SRD += inc(upper)
v_mov_b32 v10, 32                                  // set shift rows
_v_add_u32 v5, v5, v10                             // shift storeRemap coord1
_ds_store_b128 v7, v[16:19], offset:0              // storeRemap lw
_ds_store_b128 v7, v[20:23], offset:32             // storeRemap lw
_ds_store_b128 v7, v[24:27], offset:64             // storeRemap lw
	;; [unrolled: 1-line block ×3, first 2 shown]

/* Handle local read and global write */
s_waitcnt lgkmcnt(0)                               // wait for LDS write
s_barrier //wait all lds write finished

_ds_load_b128 v[16:19], v8, offset:0               // storeRemap lr
_ds_load_b128 v[20:23], v8, offset:1056            // storeRemap lr
_ds_load_b128 v[24:27], v8, offset:2112            // storeRemap lr
	;; [unrolled: 1-line block ×3, first 2 shown]

v_mov_b32 v13, v6                                  // coord1
v_mul_lo_u32 v13, v13, s[sgprStrideD1J]            // coord1 offset =  coord1 * StrideD
_v_add_lshl_u32 v13, v13, v4, 0x2                  // global write D address
s_waitcnt lgkmcnt(3)                               // wait for LDS read
_buffer_store_b128 v[16:19], v13, s[sgprSrdD:sgprSrdD+3], 0, offen, offset:0 // store D
_v_add_u32 v13, v6, 2                              // coord1 += nColPerLoad
v_mul_lo_u32 v13, v13, s[sgprStrideD1J]            // coord1 offset =  coord1 * StrideD
_v_add_lshl_u32 v13, v13, v4, 0x2                  // global write D address
s_waitcnt lgkmcnt(2)                               // wait for LDS read
_buffer_store_b128 v[20:23], v13, s[sgprSrdD:sgprSrdD+3], 0, offen, offset:0 // store D
_v_add_u32 v13, v6, 4                              // coord1 += nColPerLoad
v_mul_lo_u32 v13, v13, s[sgprStrideD1J]            // coord1 offset =  coord1 * StrideD
_v_add_lshl_u32 v13, v13, v4, 0x2                  // global write D address
s_waitcnt lgkmcnt(1)                               // wait for LDS read
_buffer_store_b128 v[24:27], v13, s[sgprSrdD:sgprSrdD+3], 0, offen, offset:0 // store D
_v_add_u32 v13, v6, 6                              // coord1 += nColPerLoad
v_mul_lo_u32 v13, v13, s[sgprStrideD1J]            // coord1 offset =  coord1 * StrideD
_v_add_lshl_u32 v13, v13, v4, 0x2                  // global write D address
s_waitcnt lgkmcnt(0)                               // wait for LDS read
_buffer_store_b128 v[28:31], v13, s[sgprSrdD:sgprSrdD+3], 0, offen, offset:0 // store D

s_barrier //wait all lds read finished
s_nop 0                                            // 1 wait state required when next inst writes vgprs held by previous dwordx4 store inst
/* optSingleColVgpr=1 optSharedColVgpr=0 optSGPRUsage=BufferLoad_Mask optSrdIncForRow=1 */

/******************************************/
/* Global Write Batch #6 (d1,d0,vc1,vc0) = */
/*    (6,0,0,0:vw4); (6,1,0,0:vw4); (6,2,0,0:vw4); (6,3,0,0:vw4) */
/******************************************/

/* calc coords, apply mask, and issue loads (if necessary) */
/* (d1,vc1,d0,vc0)=(6,0,0,0) */
/* (d1,vc1,d0,vc0)=(6,0,1,0) */
	;; [unrolled: 1-line block ×4, first 2 shown]
v_accvgpr_read_b32 v[vgprValuC+16], acc96 // copy acc to vreg[96]
v_accvgpr_read_b32 v[vgprValuC+17], acc97 // copy acc to vreg[97]
v_accvgpr_read_b32 v[vgprValuC+18], acc98 // copy acc to vreg[98]
v_accvgpr_read_b32 v[vgprValuC+19], acc99 // copy acc to vreg[99]
v_accvgpr_read_b32 v[vgprValuC+20], acc100 // copy acc to vreg[100]
v_accvgpr_read_b32 v[vgprValuC+21], acc101 // copy acc to vreg[101]
v_accvgpr_read_b32 v[vgprValuC+22], acc102 // copy acc to vreg[102]
v_accvgpr_read_b32 v[vgprValuC+23], acc103 // copy acc to vreg[103]
v_accvgpr_read_b32 v[vgprValuC+24], acc104 // copy acc to vreg[104]
v_accvgpr_read_b32 v[vgprValuC+25], acc105 // copy acc to vreg[105]
v_accvgpr_read_b32 v[vgprValuC+26], acc106 // copy acc to vreg[106]
v_accvgpr_read_b32 v[vgprValuC+27], acc107 // copy acc to vreg[107]
v_accvgpr_read_b32 v[vgprValuC+28], acc108 // copy acc to vreg[108]
v_accvgpr_read_b32 v[vgprValuC+29], acc109 // copy acc to vreg[109]
v_accvgpr_read_b32 v[vgprValuC+30], acc110 // copy acc to vreg[110]
v_accvgpr_read_b32 v[vgprValuC+31], acc111 // copy acc to vreg[111]
s_nop 1                                            // 2 wait states required before reading vgpr

/* apply mask, calc new C and issue writes */

/* StoreRemap: shift coord1 address */
s_mul_i32 s54, s[sgprStrideD1J], 128               // scale StrideD *= numRows(32) * bpe
s_add_u32  s[sgprSrdD+0], s[sgprSrdD+0], s54       // incToNextRow: gra SRD += inc(lower)
s_addc_u32  s[sgprSrdD+1], s[sgprSrdD+1], 0        // incToNextRow: gra SRD += inc(upper)
v_mov_b32 v10, 32                                  // set shift rows
_v_add_u32 v5, v5, v10                             // shift storeRemap coord1
_ds_store_b128 v7, v[16:19], offset:0              // storeRemap lw
_ds_store_b128 v7, v[20:23], offset:32             // storeRemap lw
_ds_store_b128 v7, v[24:27], offset:64             // storeRemap lw
	;; [unrolled: 1-line block ×3, first 2 shown]

/* Handle local read and global write */
s_waitcnt lgkmcnt(0)                               // wait for LDS write
s_barrier //wait all lds write finished

_ds_load_b128 v[16:19], v8, offset:0               // storeRemap lr
_ds_load_b128 v[20:23], v8, offset:1056            // storeRemap lr
_ds_load_b128 v[24:27], v8, offset:2112            // storeRemap lr
	;; [unrolled: 1-line block ×3, first 2 shown]

v_mov_b32 v13, v6                                  // coord1
v_mul_lo_u32 v13, v13, s[sgprStrideD1J]            // coord1 offset =  coord1 * StrideD
_v_add_lshl_u32 v13, v13, v4, 0x2                  // global write D address
s_waitcnt lgkmcnt(3)                               // wait for LDS read
_buffer_store_b128 v[16:19], v13, s[sgprSrdD:sgprSrdD+3], 0, offen, offset:0 // store D
_v_add_u32 v13, v6, 2                              // coord1 += nColPerLoad
v_mul_lo_u32 v13, v13, s[sgprStrideD1J]            // coord1 offset =  coord1 * StrideD
_v_add_lshl_u32 v13, v13, v4, 0x2                  // global write D address
s_waitcnt lgkmcnt(2)                               // wait for LDS read
_buffer_store_b128 v[20:23], v13, s[sgprSrdD:sgprSrdD+3], 0, offen, offset:0 // store D
_v_add_u32 v13, v6, 4                              // coord1 += nColPerLoad
	;; [unrolled: 5-line block ×3, first 2 shown]
v_mul_lo_u32 v13, v13, s[sgprStrideD1J]            // coord1 offset =  coord1 * StrideD
_v_add_lshl_u32 v13, v13, v4, 0x2                  // global write D address
s_waitcnt lgkmcnt(0)                               // wait for LDS read
_buffer_store_b128 v[28:31], v13, s[sgprSrdD:sgprSrdD+3], 0, offen, offset:0 // store D

s_barrier //wait all lds read finished
s_nop 0                                            // 1 wait state required when next inst writes vgprs held by previous dwordx4 store inst
/* optSingleColVgpr=1 optSharedColVgpr=0 optSGPRUsage=BufferLoad_Mask optSrdIncForRow=1 */

/******************************************/
/* Global Write Batch #7 (d1,d0,vc1,vc0) = */
/*    (7,0,0,0:vw4); (7,1,0,0:vw4); (7,2,0,0:vw4); (7,3,0,0:vw4) */
/******************************************/

/* calc coords, apply mask, and issue loads (if necessary) */
/* (d1,vc1,d0,vc0)=(7,0,0,0) */
/* (d1,vc1,d0,vc0)=(7,0,1,0) */
	;; [unrolled: 1-line block ×4, first 2 shown]
v_accvgpr_read_b32 v[vgprValuC+16], acc112 // copy acc to vreg[112]
v_accvgpr_read_b32 v[vgprValuC+17], acc113 // copy acc to vreg[113]
v_accvgpr_read_b32 v[vgprValuC+18], acc114 // copy acc to vreg[114]
v_accvgpr_read_b32 v[vgprValuC+19], acc115 // copy acc to vreg[115]
v_accvgpr_read_b32 v[vgprValuC+20], acc116 // copy acc to vreg[116]
v_accvgpr_read_b32 v[vgprValuC+21], acc117 // copy acc to vreg[117]
v_accvgpr_read_b32 v[vgprValuC+22], acc118 // copy acc to vreg[118]
v_accvgpr_read_b32 v[vgprValuC+23], acc119 // copy acc to vreg[119]
v_accvgpr_read_b32 v[vgprValuC+24], acc120 // copy acc to vreg[120]
v_accvgpr_read_b32 v[vgprValuC+25], acc121 // copy acc to vreg[121]
v_accvgpr_read_b32 v[vgprValuC+26], acc122 // copy acc to vreg[122]
v_accvgpr_read_b32 v[vgprValuC+27], acc123 // copy acc to vreg[123]
v_accvgpr_read_b32 v[vgprValuC+28], acc124 // copy acc to vreg[124]
v_accvgpr_read_b32 v[vgprValuC+29], acc125 // copy acc to vreg[125]
v_accvgpr_read_b32 v[vgprValuC+30], acc126 // copy acc to vreg[126]
v_accvgpr_read_b32 v[vgprValuC+31], acc127 // copy acc to vreg[127]
s_nop 1                                            // 2 wait states required before reading vgpr

/* apply mask, calc new C and issue writes */

/* StoreRemap: shift coord1 address */
s_mul_i32 s54, s[sgprStrideD1J], 128               // scale StrideD *= numRows(32) * bpe
s_add_u32  s[sgprSrdD+0], s[sgprSrdD+0], s54       // incToNextRow: gra SRD += inc(lower)
s_addc_u32  s[sgprSrdD+1], s[sgprSrdD+1], 0        // incToNextRow: gra SRD += inc(upper)
v_mov_b32 v10, 32                                  // set shift rows
_v_add_u32 v5, v5, v10                             // shift storeRemap coord1
_ds_store_b128 v7, v[16:19], offset:0              // storeRemap lw
_ds_store_b128 v7, v[20:23], offset:32             // storeRemap lw
_ds_store_b128 v7, v[24:27], offset:64             // storeRemap lw
	;; [unrolled: 1-line block ×3, first 2 shown]

/* Handle local read and global write */
s_waitcnt lgkmcnt(0)                               // wait for LDS write
s_barrier //wait all lds write finished

_ds_load_b128 v[16:19], v8, offset:0               // storeRemap lr
_ds_load_b128 v[20:23], v8, offset:1056            // storeRemap lr
_ds_load_b128 v[24:27], v8, offset:2112            // storeRemap lr
	;; [unrolled: 1-line block ×3, first 2 shown]

v_mov_b32 v13, v6                                  // coord1
v_mul_lo_u32 v13, v13, s[sgprStrideD1J]            // coord1 offset =  coord1 * StrideD
_v_add_lshl_u32 v13, v13, v4, 0x2                  // global write D address
s_waitcnt lgkmcnt(3)                               // wait for LDS read
_buffer_store_b128 v[16:19], v13, s[sgprSrdD:sgprSrdD+3], 0, offen, offset:0 // store D
_v_add_u32 v13, v6, 2                              // coord1 += nColPerLoad
v_mul_lo_u32 v13, v13, s[sgprStrideD1J]            // coord1 offset =  coord1 * StrideD
_v_add_lshl_u32 v13, v13, v4, 0x2                  // global write D address
s_waitcnt lgkmcnt(2)                               // wait for LDS read
_buffer_store_b128 v[20:23], v13, s[sgprSrdD:sgprSrdD+3], 0, offen, offset:0 // store D
_v_add_u32 v13, v6, 4                              // coord1 += nColPerLoad
	;; [unrolled: 5-line block ×3, first 2 shown]
v_mul_lo_u32 v13, v13, s[sgprStrideD1J]            // coord1 offset =  coord1 * StrideD
_v_add_lshl_u32 v13, v13, v4, 0x2                  // global write D address
s_waitcnt lgkmcnt(0)                               // wait for LDS read
_buffer_store_b128 v[28:31], v13, s[sgprSrdD:sgprSrdD+3], 0, offen, offset:0 // store D

s_barrier //wait all lds read finished
s_nop 0                                            // 1 wait state required when next inst writes vgprs held by previous dwordx4 store inst
s_branch label_GW_End_21                           // jump to end
label_GW_End_21:

s_endpgm                                           // Kernel End
OptNLL_End_15:


/******************************************/
/* Ord. NoLoadLoop - Begin                                      */
/******************************************/


	;; [unrolled: 1-line block ×4, first 2 shown]
/* iter 0 (last unrolled loop) */

/*  grEndMfmaIndex:0, lwStartMfmaIndex:56, lwEndMfmaIndex:56  */
/*  numMfmaForLR:5, barrierMfmaIndex:58 */
/*  mfmaIndex:0  */
s_waitcnt lgkmcnt(0)                               // lgkmcnt=0 vmcnt=-1wait for prior local read local write old=0, new=0 newLW=0 newLR=0
/* pack scheduling: packAIdx:3, packBIdx:0 */
_v_lshl_or_b32 v[vgprValuA_X0_I0+0], v107, 0x8, v[vgprValuA_X0_I0+0] // pack two int8 Vgpr to one half Vgpr
_v_lshl_or_b32 v108, v109, 0x8, v108               // pack two int8 Vgpr to one half Vgpr
v_or_b32 v[vgprValuA_X0_I0+0], v[vgprValuA_X0_I0+0], v108 // pack two half Vgpr to one Vgpr
s_nop  1                                           // VALU packing writes to be consumed by matrix instruction
v_mfma_i32_32x32x8i8 a[0+0:15+0], v[vgprValuA_X0_I0+0+0+0], v[vgprValuB_X0_I0+0+0+0], a[0:15]
/*  mfmaIndex:1  */
_ds_load_u8 v[vgprValuA_X1_I0+0], v[vgprLocalReadAddrA] offset:544 // L -> Reg lro=544 swapByteOffset=0 ti=128 vIdx=0 rIdx=0 oIdx=0 buffer=1 iui=0
_ds_load_u8 v110, v[vgprLocalReadAddrA] offset:680 // L -> Reg lro=544 swapByteOffset=0 ti=128 vIdx=0 rIdx=1 oIdx=0 buffer=1 iui=0
_ds_load_u8_d16_hi v111, v[vgprLocalReadAddrA] offset:816 // L -> Reg lro=544 swapByteOffset=0 ti=128 vIdx=0 rIdx=2 oIdx=0 buffer=1 iui=0
_ds_load_u8_d16_hi v112, v[vgprLocalReadAddrA] offset:952 // L -> Reg lro=544 swapByteOffset=0 ti=128 vIdx=0 rIdx=3 oIdx=0 buffer=1 iui=0
_ds_load_b128 v[vgprValuB_X4_I0+0:vgprValuB_X4_I0+0+3], v[vgprLocalReadAddrB] offset:32 // L -> Reg lro=32 swapByteOffset=0 ti=32 vIdx=0 rIdx=0 oIdx=0 buffer=4 iui=0
v_mfma_i32_32x32x8i8 a[16+0:31+0], v[vgprValuA_X0_I0+0+0+0], v[vgprValuB_X0_I0+4+0+0], a[16:31]
/*  mfmaIndex:2  */
_ds_load_b128 v[vgprValuB_X4_I0+4:vgprValuB_X4_I0+4+3], v[vgprLocalReadAddrB] offset:2336 // L -> Reg lro=32 swapByteOffset=0 ti=32 vIdx=1 rIdx=0 oIdx=0 buffer=4 iui=0
_ds_load_b128 v[vgprValuB_X4_I0+8:vgprValuB_X4_I0+8+3], v[vgprLocalReadAddrB] offset:4640 // L -> Reg lro=32 swapByteOffset=0 ti=32 vIdx=2 rIdx=0 oIdx=0 buffer=4 iui=0
	;; [unrolled: 1-line block ×3, first 2 shown]
v_mfma_i32_32x32x8i8 a[32+0:47+0], v[vgprValuA_X0_I0+0+0+0], v[vgprValuB_X0_I0+8+0+0], a[32:47]
/*  mfmaIndex:3  */
_ds_load_b128 v[vgprValuB_X4_I0+16:vgprValuB_X4_I0+16+3], v[vgprLocalReadAddrB] offset:9248 // L -> Reg lro=32 swapByteOffset=0 ti=32 vIdx=4 rIdx=0 oIdx=0 buffer=4 iui=0
_ds_load_b128 v[vgprValuB_X4_I0+20:vgprValuB_X4_I0+20+3], v[vgprLocalReadAddrB] offset:11552 // L -> Reg lro=32 swapByteOffset=0 ti=32 vIdx=5 rIdx=0 oIdx=0 buffer=4 iui=0
	;; [unrolled: 1-line block ×3, first 2 shown]
v_mfma_i32_32x32x8i8 a[48+0:63+0], v[vgprValuA_X0_I0+0+0+0], v[vgprValuB_X0_I0+12+0+0], a[48:63]
/*  mfmaIndex:4  */
_ds_load_b128 v[vgprValuB_X4_I0+28:vgprValuB_X4_I0+28+3], v[vgprLocalReadAddrB] offset:16160 // L -> Reg lro=32 swapByteOffset=0 ti=32 vIdx=7 rIdx=0 oIdx=0 buffer=4 iui=0
/* localReadsVacancy: latencyLeft 9 */
_ds_load_u8 v[vgprValuA_X2_I0+0], v[vgprLocalReadAddrA] offset:1088 // L -> Reg lro=1088 swapByteOffset=0 ti=128 vIdx=0 rIdx=0 oIdx=0 buffer=2 iui=0
_ds_load_u8 v[vgprValuA_X3_I0+0], v[vgprLocalReadAddrA] offset:1632 // L -> Reg lro=1632 swapByteOffset=0 ti=128 vIdx=0 rIdx=0 oIdx=0 buffer=3 iui=0
_ds_load_u8 v[vgprValuA_X4_I0+0], v[vgprLocalReadAddrA] offset:4352 // L -> Reg lro=4352 swapByteOffset=0 ti=128 vIdx=0 rIdx=0 oIdx=0 buffer=4 iui=0
_ds_load_u8 v[vgprValuA_X5_I0+0], v[vgprLocalReadAddrA] offset:4896 // L -> Reg lro=4896 swapByteOffset=0 ti=128 vIdx=0 rIdx=0 oIdx=0 buffer=5 iui=0
v_mfma_i32_32x32x8i8 a[64+0:79+0], v[vgprValuA_X0_I0+0+0+0], v[vgprValuB_X0_I0+16+0+0], a[64:79]
/*  mfmaIndex:5  */
/* localReadsVacancy: latencyLeft 13 */
_ds_load_u8 v[vgprValuA_X6_I0+0], v[vgprLocalReadAddrA] offset:5440 // L -> Reg lro=5440 swapByteOffset=0 ti=128 vIdx=0 rIdx=0 oIdx=0 buffer=6 iui=0
_ds_load_u8 v[vgprValuA_X7_I0+0], v[vgprLocalReadAddrA] offset:5984 // L -> Reg lro=5984 swapByteOffset=0 ti=128 vIdx=0 rIdx=0 oIdx=0 buffer=7 iui=0
v_mfma_i32_32x32x8i8 a[80+0:95+0], v[vgprValuA_X0_I0+0+0+0], v[vgprValuB_X0_I0+20+0+0], a[80:95]
/*  mfmaIndex:6  */
/* localReadsVacancy: latencyLeft 13 */
v_mfma_i32_32x32x8i8 a[96+0:111+0], v[vgprValuA_X0_I0+0+0+0], v[vgprValuB_X0_I0+24+0+0], a[96:111]
/*  mfmaIndex:7  */
/* localReadsVacancy: latencyLeft 13 */
v_mfma_i32_32x32x8i8 a[112+0:127+0], v[vgprValuA_X0_I0+0+0+0], v[vgprValuB_X0_I0+28+0+0], a[112:127]
/* numPrefetchIter=0 */
/* dataAtIterA=-1 numReadsIterA=1 skipReadsIterA=1 readsPerIterA=4 */
/* dataAtIterB=-1 numReadsIterB=1 skipReadsIterB=1 readsPerIterB=8 */


/* iter 1 (last unrolled loop) */

/*  grEndMfmaIndex:0, lwStartMfmaIndex:56, lwEndMfmaIndex:56  */
/*  numMfmaForLR:5, barrierMfmaIndex:58 */
/*  mfmaIndex:8  */
_ds_load_u8 v107, v[vgprLocalReadAddrA] offset:1224 // L -> Reg lro=1088 swapByteOffset=0 ti=128 vIdx=0 rIdx=1 oIdx=0 buffer=2 iui=0
_ds_load_u8_d16_hi v108, v[vgprLocalReadAddrA] offset:1360 // L -> Reg lro=1088 swapByteOffset=0 ti=128 vIdx=0 rIdx=2 oIdx=0 buffer=2 iui=0
_ds_load_u8_d16_hi v109, v[vgprLocalReadAddrA] offset:1496 // L -> Reg lro=1088 swapByteOffset=0 ti=128 vIdx=0 rIdx=3 oIdx=0 buffer=2 iui=0
/* localReadsVacancy: latencyLeft 7 */
s_waitcnt lgkmcnt(9)                               // lgkmcnt=0 vmcnt=-1wait for prior local read local write old=1, new=4 newLW=0 newLR=3
/* pack scheduling: packAIdx:3, packBIdx:0 */
_v_lshl_or_b32 v[vgprValuA_X1_I0+0], v110, 0x8, v[vgprValuA_X1_I0+0] // pack two int8 Vgpr to one half Vgpr
_v_lshl_or_b32 v111, v112, 0x8, v111               // pack two int8 Vgpr to one half Vgpr
v_or_b32 v[vgprValuA_X1_I0+0], v[vgprValuA_X1_I0+0], v111 // pack two half Vgpr to one Vgpr
s_nop  1                                           // VALU packing writes to be consumed by matrix instruction
v_mfma_i32_32x32x8i8 a[0+0:15+0], v[vgprValuA_X1_I0+0+0+0], v[vgprValuB_X0_I0+0+1+0], a[0:15]
/*  mfmaIndex:9  */
/* localReadsVacancy: latencyLeft 13 */
v_mfma_i32_32x32x8i8 a[16+0:31+0], v[vgprValuA_X1_I0+0+0+0], v[vgprValuB_X0_I0+4+1+0], a[16:31]
/*  mfmaIndex:10  */
/* localReadsVacancy: latencyLeft 13 */
	;; [unrolled: 3-line block ×7, first 2 shown]
v_mfma_i32_32x32x8i8 a[112+0:127+0], v[vgprValuA_X1_I0+0+0+0], v[vgprValuB_X0_I0+28+1+0], a[112:127]
/* numPrefetchIter=0 */
/* dataAtIterA=0 numReadsIterA=2 skipReadsIterA=1 readsPerIterA=4 */
/* dataAtIterB=-1 numReadsIterB=1 skipReadsIterB=0 readsPerIterB=8 */


/* iter 2 (last unrolled loop) */

/*  grEndMfmaIndex:0, lwStartMfmaIndex:56, lwEndMfmaIndex:56  */
/*  numMfmaForLR:5, barrierMfmaIndex:58 */
/*  mfmaIndex:16  */
_ds_load_u8 v110, v[vgprLocalReadAddrA] offset:1768 // L -> Reg lro=1632 swapByteOffset=0 ti=128 vIdx=0 rIdx=1 oIdx=0 buffer=3 iui=0
_ds_load_u8_d16_hi v111, v[vgprLocalReadAddrA] offset:1904 // L -> Reg lro=1632 swapByteOffset=0 ti=128 vIdx=0 rIdx=2 oIdx=0 buffer=3 iui=0
_ds_load_u8_d16_hi v112, v[vgprLocalReadAddrA] offset:2040 // L -> Reg lro=1632 swapByteOffset=0 ti=128 vIdx=0 rIdx=3 oIdx=0 buffer=3 iui=0
/* localReadsVacancy: latencyLeft 7 */
s_waitcnt lgkmcnt(3)                               // lgkmcnt=0 vmcnt=-1wait for prior local read local write old=0, new=3 newLW=0 newLR=3
/* pack scheduling: packAIdx:3, packBIdx:0 */
_v_lshl_or_b32 v[vgprValuA_X2_I0+0], v107, 0x8, v[vgprValuA_X2_I0+0] // pack two int8 Vgpr to one half Vgpr
_v_lshl_or_b32 v108, v109, 0x8, v108               // pack two int8 Vgpr to one half Vgpr
v_or_b32 v[vgprValuA_X2_I0+0], v[vgprValuA_X2_I0+0], v108 // pack two half Vgpr to one Vgpr
s_nop  1                                           // VALU packing writes to be consumed by matrix instruction
v_mfma_i32_32x32x8i8 a[0+0:15+0], v[vgprValuA_X2_I0+0+0+0], v[vgprValuB_X0_I0+0+2+0], a[0:15]
/*  mfmaIndex:17  */
/* localReadsVacancy: latencyLeft 13 */
v_mfma_i32_32x32x8i8 a[16+0:31+0], v[vgprValuA_X2_I0+0+0+0], v[vgprValuB_X0_I0+4+2+0], a[16:31]
/*  mfmaIndex:18  */
/* localReadsVacancy: latencyLeft 13 */
	;; [unrolled: 3-line block ×7, first 2 shown]
v_mfma_i32_32x32x8i8 a[112+0:127+0], v[vgprValuA_X2_I0+0+0+0], v[vgprValuB_X0_I0+28+2+0], a[112:127]
/* numPrefetchIter=0 */
/* dataAtIterA=1 numReadsIterA=3 skipReadsIterA=1 readsPerIterA=4 */
/* dataAtIterB=-1 numReadsIterB=1 skipReadsIterB=0 readsPerIterB=8 */


/* iter 3 (last unrolled loop) */

/*  grEndMfmaIndex:0, lwStartMfmaIndex:56, lwEndMfmaIndex:56  */
/*  numMfmaForLR:5, barrierMfmaIndex:58 */
/*  mfmaIndex:24  */
_ds_load_u8 v107, v[vgprLocalReadAddrA] offset:4488 // L -> Reg lro=4352 swapByteOffset=0 ti=128 vIdx=0 rIdx=1 oIdx=0 buffer=4 iui=0
_ds_load_u8_d16_hi v108, v[vgprLocalReadAddrA] offset:4624 // L -> Reg lro=4352 swapByteOffset=0 ti=128 vIdx=0 rIdx=2 oIdx=0 buffer=4 iui=0
_ds_load_u8_d16_hi v109, v[vgprLocalReadAddrA] offset:4760 // L -> Reg lro=4352 swapByteOffset=0 ti=128 vIdx=0 rIdx=3 oIdx=0 buffer=4 iui=0
/* localReadsVacancy: latencyLeft 7 */
s_waitcnt lgkmcnt(3)                               // lgkmcnt=0 vmcnt=-1wait for prior local read local write old=0, new=3 newLW=0 newLR=3
/* pack scheduling: packAIdx:3, packBIdx:0 */
_v_lshl_or_b32 v[vgprValuA_X3_I0+0], v110, 0x8, v[vgprValuA_X3_I0+0] // pack two int8 Vgpr to one half Vgpr
_v_lshl_or_b32 v111, v112, 0x8, v111               // pack two int8 Vgpr to one half Vgpr
v_or_b32 v[vgprValuA_X3_I0+0], v[vgprValuA_X3_I0+0], v111 // pack two half Vgpr to one Vgpr
s_nop  1                                           // VALU packing writes to be consumed by matrix instruction
v_mfma_i32_32x32x8i8 a[0+0:15+0], v[vgprValuA_X3_I0+0+0+0], v[vgprValuB_X0_I0+0+3+0], a[0:15]
/*  mfmaIndex:25  */
/* localReadsVacancy: latencyLeft 13 */
v_mfma_i32_32x32x8i8 a[16+0:31+0], v[vgprValuA_X3_I0+0+0+0], v[vgprValuB_X0_I0+4+3+0], a[16:31]
/*  mfmaIndex:26  */
/* localReadsVacancy: latencyLeft 13 */
	;; [unrolled: 3-line block ×7, first 2 shown]
v_mfma_i32_32x32x8i8 a[112+0:127+0], v[vgprValuA_X3_I0+0+0+0], v[vgprValuB_X0_I0+28+3+0], a[112:127]
/* numPrefetchIter=0 */
/* dataAtIterA=2 numReadsIterA=4 skipReadsIterA=1 readsPerIterA=4 */
/* dataAtIterB=-1 numReadsIterB=1 skipReadsIterB=0 readsPerIterB=8 */


/* iter 4 (last unrolled loop) */

/*  grEndMfmaIndex:0, lwStartMfmaIndex:56, lwEndMfmaIndex:56  */
/*  numMfmaForLR:5, barrierMfmaIndex:58 */
/*  mfmaIndex:32  */
_ds_load_u8 v110, v[vgprLocalReadAddrA] offset:5032 // L -> Reg lro=4896 swapByteOffset=0 ti=128 vIdx=0 rIdx=1 oIdx=0 buffer=5 iui=0
_ds_load_u8_d16_hi v111, v[vgprLocalReadAddrA] offset:5168 // L -> Reg lro=4896 swapByteOffset=0 ti=128 vIdx=0 rIdx=2 oIdx=0 buffer=5 iui=0
_ds_load_u8_d16_hi v112, v[vgprLocalReadAddrA] offset:5304 // L -> Reg lro=4896 swapByteOffset=0 ti=128 vIdx=0 rIdx=3 oIdx=0 buffer=5 iui=0
/* localReadsVacancy: latencyLeft 7 */
s_waitcnt lgkmcnt(3)                               // lgkmcnt=0 vmcnt=-1wait for prior local read local write old=0, new=3 newLW=0 newLR=3
/* pack scheduling: packAIdx:3, packBIdx:0 */
_v_lshl_or_b32 v[vgprValuA_X4_I0+0], v107, 0x8, v[vgprValuA_X4_I0+0] // pack two int8 Vgpr to one half Vgpr
_v_lshl_or_b32 v108, v109, 0x8, v108               // pack two int8 Vgpr to one half Vgpr
v_or_b32 v[vgprValuA_X4_I0+0], v[vgprValuA_X4_I0+0], v108 // pack two half Vgpr to one Vgpr
s_nop  1                                           // VALU packing writes to be consumed by matrix instruction
v_mfma_i32_32x32x8i8 a[0+0:15+0], v[vgprValuA_X4_I0+0+0+0], v[vgprValuB_X4_I0+0+0+0], a[0:15]
/*  mfmaIndex:33  */
/* localReadsVacancy: latencyLeft 13 */
v_mfma_i32_32x32x8i8 a[16+0:31+0], v[vgprValuA_X4_I0+0+0+0], v[vgprValuB_X4_I0+4+0+0], a[16:31]
/*  mfmaIndex:34  */
/* localReadsVacancy: latencyLeft 13 */
	;; [unrolled: 3-line block ×7, first 2 shown]
v_mfma_i32_32x32x8i8 a[112+0:127+0], v[vgprValuA_X4_I0+0+0+0], v[vgprValuB_X4_I0+28+0+0], a[112:127]
/* numPrefetchIter=0 */
/* dataAtIterA=3 numReadsIterA=5 skipReadsIterA=1 readsPerIterA=4 */
/* dataAtIterB=0 numReadsIterB=1 skipReadsIterB=0 readsPerIterB=8 */


/* iter 5 (last unrolled loop) */

/*  grEndMfmaIndex:0, lwStartMfmaIndex:56, lwEndMfmaIndex:56  */
/*  numMfmaForLR:5, barrierMfmaIndex:58 */
/*  mfmaIndex:40  */
_ds_load_u8 v107, v[vgprLocalReadAddrA] offset:5576 // L -> Reg lro=5440 swapByteOffset=0 ti=128 vIdx=0 rIdx=1 oIdx=0 buffer=6 iui=0
_ds_load_u8_d16_hi v108, v[vgprLocalReadAddrA] offset:5712 // L -> Reg lro=5440 swapByteOffset=0 ti=128 vIdx=0 rIdx=2 oIdx=0 buffer=6 iui=0
_ds_load_u8_d16_hi v109, v[vgprLocalReadAddrA] offset:5848 // L -> Reg lro=5440 swapByteOffset=0 ti=128 vIdx=0 rIdx=3 oIdx=0 buffer=6 iui=0
/* localReadsVacancy: latencyLeft 7 */
s_waitcnt lgkmcnt(3)                               // lgkmcnt=0 vmcnt=-1wait for prior local read local write old=0, new=3 newLW=0 newLR=3
/* pack scheduling: packAIdx:3, packBIdx:0 */
_v_lshl_or_b32 v[vgprValuA_X5_I0+0], v110, 0x8, v[vgprValuA_X5_I0+0] // pack two int8 Vgpr to one half Vgpr
_v_lshl_or_b32 v111, v112, 0x8, v111               // pack two int8 Vgpr to one half Vgpr
v_or_b32 v[vgprValuA_X5_I0+0], v[vgprValuA_X5_I0+0], v111 // pack two half Vgpr to one Vgpr
s_nop  1                                           // VALU packing writes to be consumed by matrix instruction
v_mfma_i32_32x32x8i8 a[0+0:15+0], v[vgprValuA_X5_I0+0+0+0], v[vgprValuB_X4_I0+0+1+0], a[0:15]
/*  mfmaIndex:41  */
/* localReadsVacancy: latencyLeft 13 */
v_mfma_i32_32x32x8i8 a[16+0:31+0], v[vgprValuA_X5_I0+0+0+0], v[vgprValuB_X4_I0+4+1+0], a[16:31]
/*  mfmaIndex:42  */
/* localReadsVacancy: latencyLeft 13 */
	;; [unrolled: 3-line block ×7, first 2 shown]
v_mfma_i32_32x32x8i8 a[112+0:127+0], v[vgprValuA_X5_I0+0+0+0], v[vgprValuB_X4_I0+28+1+0], a[112:127]
/* numPrefetchIter=0 */
/* dataAtIterA=4 numReadsIterA=6 skipReadsIterA=1 readsPerIterA=4 */
/* dataAtIterB=0 numReadsIterB=1 skipReadsIterB=0 readsPerIterB=8 */


/* iter 6 (last unrolled loop) */

/*  grEndMfmaIndex:0, lwStartMfmaIndex:56, lwEndMfmaIndex:56  */
/*  numMfmaForLR:5, barrierMfmaIndex:58 */
/*  mfmaIndex:48  */
_ds_load_u8 v110, v[vgprLocalReadAddrA] offset:6120 // L -> Reg lro=5984 swapByteOffset=0 ti=128 vIdx=0 rIdx=1 oIdx=0 buffer=7 iui=0
_ds_load_u8_d16_hi v111, v[vgprLocalReadAddrA] offset:6256 // L -> Reg lro=5984 swapByteOffset=0 ti=128 vIdx=0 rIdx=2 oIdx=0 buffer=7 iui=0
_ds_load_u8_d16_hi v112, v[vgprLocalReadAddrA] offset:6392 // L -> Reg lro=5984 swapByteOffset=0 ti=128 vIdx=0 rIdx=3 oIdx=0 buffer=7 iui=0
/* localReadsVacancy: latencyLeft 7 */
s_waitcnt lgkmcnt(3)                               // lgkmcnt=0 vmcnt=-1wait for prior local read local write old=0, new=3 newLW=0 newLR=3
/* pack scheduling: packAIdx:3, packBIdx:0 */
_v_lshl_or_b32 v[vgprValuA_X6_I0+0], v107, 0x8, v[vgprValuA_X6_I0+0] // pack two int8 Vgpr to one half Vgpr
_v_lshl_or_b32 v108, v109, 0x8, v108               // pack two int8 Vgpr to one half Vgpr
v_or_b32 v[vgprValuA_X6_I0+0], v[vgprValuA_X6_I0+0], v108 // pack two half Vgpr to one Vgpr
s_nop  1                                           // VALU packing writes to be consumed by matrix instruction
v_mfma_i32_32x32x8i8 a[0+0:15+0], v[vgprValuA_X6_I0+0+0+0], v[vgprValuB_X4_I0+0+2+0], a[0:15]
/*  mfmaIndex:49  */
/* localReadsVacancy: latencyLeft 13 */
v_mfma_i32_32x32x8i8 a[16+0:31+0], v[vgprValuA_X6_I0+0+0+0], v[vgprValuB_X4_I0+4+2+0], a[16:31]
/*  mfmaIndex:50  */
/* localReadsVacancy: latencyLeft 13 */
	;; [unrolled: 3-line block ×7, first 2 shown]
/* 1 LDS buffer: read-sync-write */
s_waitcnt lgkmcnt(0)                               // 
s_barrier                                          // 
v_mfma_i32_32x32x8i8 a[112+0:127+0], v[vgprValuA_X6_I0+0+0+0], v[vgprValuB_X4_I0+28+2+0], a[112:127]
/* numPrefetchIter=0 */
/* dataAtIterA=5 numReadsIterA=7 skipReadsIterA=1 readsPerIterA=4 */
/* dataAtIterB=0 numReadsIterB=1 skipReadsIterB=0 readsPerIterB=8 */


/* iter 7 (last unrolled loop) */

/*  grEndMfmaIndex:0, lwStartMfmaIndex:56, lwEndMfmaIndex:56  */
/*  numMfmaForLR:5, barrierMfmaIndex:58 */
/*  mfmaIndex:56  */
s_waitcnt lgkmcnt(0)                               // lgkmcnt=0 vmcnt=-1wait for prior local read local write old=0, new=0 newLW=0 newLR=0
/* pack scheduling: packAIdx:3, packBIdx:0 */
_v_lshl_or_b32 v[vgprValuA_X7_I0+0], v110, 0x8, v[vgprValuA_X7_I0+0] // pack two int8 Vgpr to one half Vgpr
_v_lshl_or_b32 v111, v112, 0x8, v111               // pack two int8 Vgpr to one half Vgpr
v_or_b32 v[vgprValuA_X7_I0+0], v[vgprValuA_X7_I0+0], v111 // pack two half Vgpr to one Vgpr
s_nop  1                                           // VALU packing writes to be consumed by matrix instruction
v_mfma_i32_32x32x8i8 a[0+0:15+0], v[vgprValuA_X7_I0+0+0+0], v[vgprValuB_X4_I0+0+3+0], a[0:15]
/*  mfmaIndex:57  */
v_mfma_i32_32x32x8i8 a[16+0:31+0], v[vgprValuA_X7_I0+0+0+0], v[vgprValuB_X4_I0+4+3+0], a[16:31]
/*  mfmaIndex:58  */
	;; [unrolled: 2-line block ×7, first 2 shown]
v_mfma_i32_32x32x8i8 a[112+0:127+0], v[vgprValuA_X7_I0+0+0+0], v[vgprValuB_X4_I0+28+3+0], a[112:127]
/* numPrefetchIter=0 */
/* dataAtIterA=6 numReadsIterA=7 skipReadsIterA=0 readsPerIterA=4 */
/* dataAtIterB=0 numReadsIterB=1 skipReadsIterB=0 readsPerIterB=8 */

PrefetchGlobalLastIterEnd_5:


/******************************************/
/* Tail Loop                              */
/******************************************/


/* local write reset offsets a */


	;; [unrolled: 1-line block ×4, first 2 shown]
/* local write reset offsets b */


	;; [unrolled: 1-line block ×4, first 2 shown]
//numIterL = (((sizeL % LOCAL_DEPTHU) + LOCAL_SPLITU - 1) / LOCAL_SPLITU)
s_and_b32 s[sgprLoopCounterL], 63, s[sgprSizesSum+0] // s[sgprLoopCounterL] = s[sgprSizesSum+0] % 64
s_cmp_eq_u32 s[sgprLoopCounterL], 0x0              // numIterL == 0
s_cbranch_scc1 SkipTailLoopL_8                     // skip to end of tail loop b/c numIter==0
s_mov_b32 s[sgprOrigLoopCounter], 0                // repurpose to count each localRead increment


/* remove stagger offsets for tail loop */

s_mov_b32 s56, 3                                   // 
s_mul_hi_u32 s55, s56, s[sgprGlobalReadIncsA+0]    // 3 * GlobalReadIncs
s_mul_i32 s54, s56, s[sgprGlobalReadIncsA+0]       // 3 * GlobalReadIncs
s_mul_hi_u32 s57, s[sgprStaggerUIter], s[sgprGlobalReadIncsA+0] // StaggerUIter * GlobalReadIncs
s_mul_i32 s56, s[sgprStaggerUIter], s[sgprGlobalReadIncsA+0] // StaggerUIter * GlobalReadIncs
s_sub_u32 s54, s54, s56                            // start offset S in bytes
s_subb_u32 s55, s55, s57                           // start offset S in bytes
s_sub_u32 s54, s54, s[sgprWrapUA]                  // S - WrapU
s_subb_u32 s55, s55, s[sgprWrapUA+1]               // S - WrapU
s_add_u32 s[sgprSrdA+0], s[sgprSrdA+0], s54        // gra SRD += inc(lower)
s_addc_u32  s[sgprSrdA+1], s[sgprSrdA+1], s55      // gra SRD += inc(upper)
s_sub_u32 s[sgprShadowLimitA+0], s[sgprShadowLimitA+0], s54 // limit -= inc)
s_subb_u32 s[sgprShadowLimitA+1], s[sgprShadowLimitA+1], s55 // limit -= inc)
s_cmp_eq_u32 s[sgprShadowLimitA+1], 0              // are we within 2^32?
s_cselect_b32 s[sgprSrdA+2], s[sgprShadowLimitA+0], BufferLimitA // Move shadow to real if we are within 2^32

s_mov_b32 s56, 3                                   // 
s_mul_hi_u32 s55, s56, s[sgprGlobalReadIncsB+0]    // 3 * GlobalReadIncs
s_mul_i32 s54, s56, s[sgprGlobalReadIncsB+0]       // 3 * GlobalReadIncs
s_mul_hi_u32 s57, s[sgprStaggerUIter], s[sgprGlobalReadIncsB+0] // StaggerUIter * GlobalReadIncs
s_mul_i32 s56, s[sgprStaggerUIter], s[sgprGlobalReadIncsB+0] // StaggerUIter * GlobalReadIncs
s_sub_u32 s54, s54, s56                            // start offset S in bytes
s_subb_u32 s55, s55, s57                           // start offset S in bytes
s_sub_u32 s54, s54, s[sgprWrapUB]                  // S - WrapU
s_subb_u32 s55, s55, s[sgprWrapUB+1]               // S - WrapU
s_add_u32 s[sgprSrdB+0], s[sgprSrdB+0], s54        // gra SRD += inc(lower)
s_addc_u32  s[sgprSrdB+1], s[sgprSrdB+1], s55      // gra SRD += inc(upper)
s_sub_u32 s[sgprShadowLimitB+0], s[sgprShadowLimitB+0], s54 // limit -= inc)
s_subb_u32 s[sgprShadowLimitB+1], s[sgprShadowLimitB+1], s55 // limit -= inc)
s_cmp_eq_u32 s[sgprShadowLimitB+1], 0              // are we within 2^32?
s_cselect_b32 s[sgprSrdB+2], s[sgprShadowLimitB+0], BufferLimitB // Move shadow to real if we are within 2^32


/* Update M0 for DTLDS */


	;; [unrolled: 1-line block ×3, first 2 shown]
/* global read a */

/* g2l=0, load component 0 */
_buffer_load_d16_u8 v[vgprG2LA+0+0], v[vgprGlobalReadOffsetA+0], s[sgprSrdA:sgprSrdA+3], 0, offen offset:0 // load one buffer value
/* g2l=0, load component 1 */
_buffer_load_d16_u8 v107, v[vgprGlobalReadOffsetA+0], s[sgprSrdA:sgprSrdA+3], 0, offen offset:1 // load one buffer value
/* g2l=0, load component 2 */
_buffer_load_d16_hi_u8 v108, v[vgprGlobalReadOffsetA+0], s[sgprSrdA:sgprSrdA+3], 0, offen offset:2 // load one buffer value
/* g2l=0, load component 3 */
_buffer_load_d16_hi_u8 v109, v[vgprGlobalReadOffsetA+0], s[sgprSrdA:sgprSrdA+3], 0, offen offset:3 // load one buffer value
/* g2l=0, load component 4 */
_buffer_load_d16_u8 v[vgprG2LA+0+1], v[vgprGlobalReadOffsetA+0], s[sgprSrdA:sgprSrdA+3], 0, offen offset:4 // load one buffer value
/* g2l=0, load component 5 */
_buffer_load_d16_u8 v111, v[vgprGlobalReadOffsetA+0], s[sgprSrdA:sgprSrdA+3], 0, offen offset:5 // load one buffer value
/* g2l=0, load component 6 */
_buffer_load_d16_hi_u8 v112, v[vgprGlobalReadOffsetA+0], s[sgprSrdA:sgprSrdA+3], 0, offen offset:6 // load one buffer value
/* g2l=0, load component 7 */
_buffer_load_d16_hi_u8 v113, v[vgprGlobalReadOffsetA+0], s[sgprSrdA:sgprSrdA+3], 0, offen offset:7 // load one buffer value
	;; [unrolled: 8-line block ×4, first 2 shown]
s_waitcnt vmcnt(14)
v_lshlrev_b32 v107, 0x8, v107                      // shift left to higher 8 bits
v_or_b32 v[vgprG2LA+0+0], v[vgprG2LA+0+0], v107    // pack a sub 8-bit with dest
s_waitcnt vmcnt(13)
v_or_b32 v[vgprG2LA+0+0], v[vgprG2LA+0+0], v108    // pack a sub 8-bit with dest
s_waitcnt vmcnt(12)
v_lshlrev_b32 v109, 0x8, v109                      // shift left to higher 8 bits
v_or_b32 v[vgprG2LA+0+0], v[vgprG2LA+0+0], v109    // pack a sub 8-bit with dest
s_waitcnt vmcnt(10)
v_lshlrev_b32 v111, 0x8, v111                      // shift left to higher 8 bits
v_or_b32 v[vgprG2LA+0+1], v[vgprG2LA+0+1], v111    // pack a sub 8-bit with dest
s_waitcnt vmcnt(9)
v_or_b32 v[vgprG2LA+0+1], v[vgprG2LA+0+1], v112    // pack a sub 8-bit with dest
s_waitcnt vmcnt(8)
v_lshlrev_b32 v113, 0x8, v113                      // shift left to higher 8 bits
v_or_b32 v[vgprG2LA+0+1], v[vgprG2LA+0+1], v113    // pack a sub 8-bit with dest
	;; [unrolled: 8-line block ×4, first 2 shown]
/* g2l=4, load component 0 */
_buffer_load_d16_u8 v[vgprG2LA+4+0], v[vgprGlobalReadOffsetA+1], s[sgprSrdA:sgprSrdA+3], 0, offen offset:0 // load one buffer value
/* g2l=4, load component 1 */
_buffer_load_d16_u8 v107, v[vgprGlobalReadOffsetA+1], s[sgprSrdA:sgprSrdA+3], 0, offen offset:1 // load one buffer value
/* g2l=4, load component 2 */
_buffer_load_d16_hi_u8 v108, v[vgprGlobalReadOffsetA+1], s[sgprSrdA:sgprSrdA+3], 0, offen offset:2 // load one buffer value
/* g2l=4, load component 3 */
_buffer_load_d16_hi_u8 v109, v[vgprGlobalReadOffsetA+1], s[sgprSrdA:sgprSrdA+3], 0, offen offset:3 // load one buffer value
/* g2l=4, load component 4 */
_buffer_load_d16_u8 v[vgprG2LA+4+1], v[vgprGlobalReadOffsetA+1], s[sgprSrdA:sgprSrdA+3], 0, offen offset:4 // load one buffer value
/* g2l=4, load component 5 */
_buffer_load_d16_u8 v111, v[vgprGlobalReadOffsetA+1], s[sgprSrdA:sgprSrdA+3], 0, offen offset:5 // load one buffer value
/* g2l=4, load component 6 */
_buffer_load_d16_hi_u8 v112, v[vgprGlobalReadOffsetA+1], s[sgprSrdA:sgprSrdA+3], 0, offen offset:6 // load one buffer value
/* g2l=4, load component 7 */
_buffer_load_d16_hi_u8 v113, v[vgprGlobalReadOffsetA+1], s[sgprSrdA:sgprSrdA+3], 0, offen offset:7 // load one buffer value
	;; [unrolled: 8-line block ×4, first 2 shown]
s_waitcnt vmcnt(14)
v_lshlrev_b32 v107, 0x8, v107                      // shift left to higher 8 bits
v_or_b32 v[vgprG2LA+4+0], v[vgprG2LA+4+0], v107    // pack a sub 8-bit with dest
s_waitcnt vmcnt(13)
v_or_b32 v[vgprG2LA+4+0], v[vgprG2LA+4+0], v108    // pack a sub 8-bit with dest
s_waitcnt vmcnt(12)
v_lshlrev_b32 v109, 0x8, v109                      // shift left to higher 8 bits
v_or_b32 v[vgprG2LA+4+0], v[vgprG2LA+4+0], v109    // pack a sub 8-bit with dest
s_waitcnt vmcnt(10)
v_lshlrev_b32 v111, 0x8, v111                      // shift left to higher 8 bits
v_or_b32 v[vgprG2LA+4+1], v[vgprG2LA+4+1], v111    // pack a sub 8-bit with dest
s_waitcnt vmcnt(9)
v_or_b32 v[vgprG2LA+4+1], v[vgprG2LA+4+1], v112    // pack a sub 8-bit with dest
s_waitcnt vmcnt(8)
v_lshlrev_b32 v113, 0x8, v113                      // shift left to higher 8 bits
v_or_b32 v[vgprG2LA+4+1], v[vgprG2LA+4+1], v113    // pack a sub 8-bit with dest
	;; [unrolled: 8-line block ×4, first 2 shown]


/* Update M0 for DTLDS */



/* global read b */

/* g2l=0, load component 0 */
_buffer_load_d16_u8 v[vgprG2LB+0+0], v[vgprGlobalReadOffsetB+0], s[sgprSrdB:sgprSrdB+3], 0, offen offset:0 // load one buffer value
/* g2l=0, load component 1 */
_buffer_load_d16_u8 v107, v[vgprGlobalReadOffsetB+0], s[sgprSrdB:sgprSrdB+3], 0, offen offset:1 // load one buffer value
/* g2l=0, load component 2 */
_buffer_load_d16_hi_u8 v108, v[vgprGlobalReadOffsetB+0], s[sgprSrdB:sgprSrdB+3], 0, offen offset:2 // load one buffer value
/* g2l=0, load component 3 */
_buffer_load_d16_hi_u8 v109, v[vgprGlobalReadOffsetB+0], s[sgprSrdB:sgprSrdB+3], 0, offen offset:3 // load one buffer value
/* g2l=0, load component 4 */
_buffer_load_d16_u8 v[vgprG2LB+0+1], v[vgprGlobalReadOffsetB+0], s[sgprSrdB:sgprSrdB+3], 0, offen offset:4 // load one buffer value
/* g2l=0, load component 5 */
_buffer_load_d16_u8 v111, v[vgprGlobalReadOffsetB+0], s[sgprSrdB:sgprSrdB+3], 0, offen offset:5 // load one buffer value
/* g2l=0, load component 6 */
_buffer_load_d16_hi_u8 v112, v[vgprGlobalReadOffsetB+0], s[sgprSrdB:sgprSrdB+3], 0, offen offset:6 // load one buffer value
/* g2l=0, load component 7 */
_buffer_load_d16_hi_u8 v113, v[vgprGlobalReadOffsetB+0], s[sgprSrdB:sgprSrdB+3], 0, offen offset:7 // load one buffer value
/* g2l=0, load component 8 */
_buffer_load_d16_u8 v[vgprG2LB+0+2], v[vgprGlobalReadOffsetB+0], s[sgprSrdB:sgprSrdB+3], 0, offen offset:8 // load one buffer value
/* g2l=0, load component 9 */
_buffer_load_d16_u8 v115, v[vgprGlobalReadOffsetB+0], s[sgprSrdB:sgprSrdB+3], 0, offen offset:9 // load one buffer value
/* g2l=0, load component 10 */
_buffer_load_d16_hi_u8 v116, v[vgprGlobalReadOffsetB+0], s[sgprSrdB:sgprSrdB+3], 0, offen offset:10 // load one buffer value
/* g2l=0, load component 11 */
_buffer_load_d16_hi_u8 v117, v[vgprGlobalReadOffsetB+0], s[sgprSrdB:sgprSrdB+3], 0, offen offset:11 // load one buffer value
/* g2l=0, load component 12 */
_buffer_load_d16_u8 v[vgprG2LB+0+3], v[vgprGlobalReadOffsetB+0], s[sgprSrdB:sgprSrdB+3], 0, offen offset:12 // load one buffer value
/* g2l=0, load component 13 */
_buffer_load_d16_u8 v119, v[vgprGlobalReadOffsetB+0], s[sgprSrdB:sgprSrdB+3], 0, offen offset:13 // load one buffer value
/* g2l=0, load component 14 */
_buffer_load_d16_hi_u8 v120, v[vgprGlobalReadOffsetB+0], s[sgprSrdB:sgprSrdB+3], 0, offen offset:14 // load one buffer value
/* g2l=0, load component 15 */
_buffer_load_d16_hi_u8 v121, v[vgprGlobalReadOffsetB+0], s[sgprSrdB:sgprSrdB+3], 0, offen offset:15 // load one buffer value
s_waitcnt vmcnt(14)
v_lshlrev_b32 v107, 0x8, v107                      // shift left to higher 8 bits
v_or_b32 v[vgprG2LB+0+0], v[vgprG2LB+0+0], v107    // pack a sub 8-bit with dest
s_waitcnt vmcnt(13)
v_or_b32 v[vgprG2LB+0+0], v[vgprG2LB+0+0], v108    // pack a sub 8-bit with dest
s_waitcnt vmcnt(12)
v_lshlrev_b32 v109, 0x8, v109                      // shift left to higher 8 bits
v_or_b32 v[vgprG2LB+0+0], v[vgprG2LB+0+0], v109    // pack a sub 8-bit with dest
s_waitcnt vmcnt(10)
v_lshlrev_b32 v111, 0x8, v111                      // shift left to higher 8 bits
v_or_b32 v[vgprG2LB+0+1], v[vgprG2LB+0+1], v111    // pack a sub 8-bit with dest
s_waitcnt vmcnt(9)
v_or_b32 v[vgprG2LB+0+1], v[vgprG2LB+0+1], v112    // pack a sub 8-bit with dest
s_waitcnt vmcnt(8)
v_lshlrev_b32 v113, 0x8, v113                      // shift left to higher 8 bits
v_or_b32 v[vgprG2LB+0+1], v[vgprG2LB+0+1], v113    // pack a sub 8-bit with dest
s_waitcnt vmcnt(6)
v_lshlrev_b32 v115, 0x8, v115                      // shift left to higher 8 bits
v_or_b32 v[vgprG2LB+0+2], v[vgprG2LB+0+2], v115    // pack a sub 8-bit with dest
s_waitcnt vmcnt(5)
v_or_b32 v[vgprG2LB+0+2], v[vgprG2LB+0+2], v116    // pack a sub 8-bit with dest
s_waitcnt vmcnt(4)
v_lshlrev_b32 v117, 0x8, v117                      // shift left to higher 8 bits
v_or_b32 v[vgprG2LB+0+2], v[vgprG2LB+0+2], v117    // pack a sub 8-bit with dest
s_waitcnt vmcnt(2)
v_lshlrev_b32 v119, 0x8, v119                      // shift left to higher 8 bits
v_or_b32 v[vgprG2LB+0+3], v[vgprG2LB+0+3], v119    // pack a sub 8-bit with dest
s_waitcnt vmcnt(1)
v_or_b32 v[vgprG2LB+0+3], v[vgprG2LB+0+3], v120    // pack a sub 8-bit with dest
s_waitcnt vmcnt(0)
v_lshlrev_b32 v121, 0x8, v121                      // shift left to higher 8 bits
v_or_b32 v[vgprG2LB+0+3], v[vgprG2LB+0+3], v121    // pack a sub 8-bit with dest
/* g2l=4, load component 0 */
_buffer_load_d16_u8 v[vgprG2LB+4+0], v[vgprGlobalReadOffsetB+1], s[sgprSrdB:sgprSrdB+3], 0, offen offset:0 // load one buffer value
/* g2l=4, load component 1 */
_buffer_load_d16_u8 v107, v[vgprGlobalReadOffsetB+1], s[sgprSrdB:sgprSrdB+3], 0, offen offset:1 // load one buffer value
/* g2l=4, load component 2 */
_buffer_load_d16_hi_u8 v108, v[vgprGlobalReadOffsetB+1], s[sgprSrdB:sgprSrdB+3], 0, offen offset:2 // load one buffer value
/* g2l=4, load component 3 */
_buffer_load_d16_hi_u8 v109, v[vgprGlobalReadOffsetB+1], s[sgprSrdB:sgprSrdB+3], 0, offen offset:3 // load one buffer value
/* g2l=4, load component 4 */
_buffer_load_d16_u8 v[vgprG2LB+4+1], v[vgprGlobalReadOffsetB+1], s[sgprSrdB:sgprSrdB+3], 0, offen offset:4 // load one buffer value
/* g2l=4, load component 5 */
_buffer_load_d16_u8 v111, v[vgprGlobalReadOffsetB+1], s[sgprSrdB:sgprSrdB+3], 0, offen offset:5 // load one buffer value
/* g2l=4, load component 6 */
_buffer_load_d16_hi_u8 v112, v[vgprGlobalReadOffsetB+1], s[sgprSrdB:sgprSrdB+3], 0, offen offset:6 // load one buffer value
/* g2l=4, load component 7 */
_buffer_load_d16_hi_u8 v113, v[vgprGlobalReadOffsetB+1], s[sgprSrdB:sgprSrdB+3], 0, offen offset:7 // load one buffer value
/* g2l=4, load component 8 */
_buffer_load_d16_u8 v[vgprG2LB+4+2], v[vgprGlobalReadOffsetB+1], s[sgprSrdB:sgprSrdB+3], 0, offen offset:8 // load one buffer value
/* g2l=4, load component 9 */
_buffer_load_d16_u8 v115, v[vgprGlobalReadOffsetB+1], s[sgprSrdB:sgprSrdB+3], 0, offen offset:9 // load one buffer value
/* g2l=4, load component 10 */
_buffer_load_d16_hi_u8 v116, v[vgprGlobalReadOffsetB+1], s[sgprSrdB:sgprSrdB+3], 0, offen offset:10 // load one buffer value
/* g2l=4, load component 11 */
_buffer_load_d16_hi_u8 v117, v[vgprGlobalReadOffsetB+1], s[sgprSrdB:sgprSrdB+3], 0, offen offset:11 // load one buffer value
/* g2l=4, load component 12 */
_buffer_load_d16_u8 v[vgprG2LB+4+3], v[vgprGlobalReadOffsetB+1], s[sgprSrdB:sgprSrdB+3], 0, offen offset:12 // load one buffer value
/* g2l=4, load component 13 */
_buffer_load_d16_u8 v119, v[vgprGlobalReadOffsetB+1], s[sgprSrdB:sgprSrdB+3], 0, offen offset:13 // load one buffer value
/* g2l=4, load component 14 */
_buffer_load_d16_hi_u8 v120, v[vgprGlobalReadOffsetB+1], s[sgprSrdB:sgprSrdB+3], 0, offen offset:14 // load one buffer value
/* g2l=4, load component 15 */
_buffer_load_d16_hi_u8 v121, v[vgprGlobalReadOffsetB+1], s[sgprSrdB:sgprSrdB+3], 0, offen offset:15 // load one buffer value
s_waitcnt vmcnt(14)
v_lshlrev_b32 v107, 0x8, v107                      // shift left to higher 8 bits
v_or_b32 v[vgprG2LB+4+0], v[vgprG2LB+4+0], v107    // pack a sub 8-bit with dest
s_waitcnt vmcnt(13)
v_or_b32 v[vgprG2LB+4+0], v[vgprG2LB+4+0], v108    // pack a sub 8-bit with dest
s_waitcnt vmcnt(12)
v_lshlrev_b32 v109, 0x8, v109                      // shift left to higher 8 bits
v_or_b32 v[vgprG2LB+4+0], v[vgprG2LB+4+0], v109    // pack a sub 8-bit with dest
s_waitcnt vmcnt(10)
v_lshlrev_b32 v111, 0x8, v111                      // shift left to higher 8 bits
v_or_b32 v[vgprG2LB+4+1], v[vgprG2LB+4+1], v111    // pack a sub 8-bit with dest
s_waitcnt vmcnt(9)
v_or_b32 v[vgprG2LB+4+1], v[vgprG2LB+4+1], v112    // pack a sub 8-bit with dest
s_waitcnt vmcnt(8)
v_lshlrev_b32 v113, 0x8, v113                      // shift left to higher 8 bits
v_or_b32 v[vgprG2LB+4+1], v[vgprG2LB+4+1], v113    // pack a sub 8-bit with dest
s_waitcnt vmcnt(6)
v_lshlrev_b32 v115, 0x8, v115                      // shift left to higher 8 bits
v_or_b32 v[vgprG2LB+4+2], v[vgprG2LB+4+2], v115    // pack a sub 8-bit with dest
s_waitcnt vmcnt(5)
v_or_b32 v[vgprG2LB+4+2], v[vgprG2LB+4+2], v116    // pack a sub 8-bit with dest
s_waitcnt vmcnt(4)
v_lshlrev_b32 v117, 0x8, v117                      // shift left to higher 8 bits
v_or_b32 v[vgprG2LB+4+2], v[vgprG2LB+4+2], v117    // pack a sub 8-bit with dest
s_waitcnt vmcnt(2)
v_lshlrev_b32 v119, 0x8, v119                      // shift left to higher 8 bits
v_or_b32 v[vgprG2LB+4+3], v[vgprG2LB+4+3], v119    // pack a sub 8-bit with dest
s_waitcnt vmcnt(1)
v_or_b32 v[vgprG2LB+4+3], v[vgprG2LB+4+3], v120    // pack a sub 8-bit with dest
s_waitcnt vmcnt(0)
v_lshlrev_b32 v121, 0x8, v121                      // shift left to higher 8 bits
v_or_b32 v[vgprG2LB+4+3], v[vgprG2LB+4+3], v121    // pack a sub 8-bit with dest
	;; [unrolled: 64-line block ×3, first 2 shown]
/* g2l=12, load component 0 */
_buffer_load_d16_u8 v[vgprG2LB+12+0], v[vgprGlobalReadOffsetB+3], s[sgprSrdB:sgprSrdB+3], 0, offen offset:0 // load one buffer value
/* g2l=12, load component 1 */
_buffer_load_d16_u8 v107, v[vgprGlobalReadOffsetB+3], s[sgprSrdB:sgprSrdB+3], 0, offen offset:1 // load one buffer value
/* g2l=12, load component 2 */
_buffer_load_d16_hi_u8 v108, v[vgprGlobalReadOffsetB+3], s[sgprSrdB:sgprSrdB+3], 0, offen offset:2 // load one buffer value
/* g2l=12, load component 3 */
_buffer_load_d16_hi_u8 v109, v[vgprGlobalReadOffsetB+3], s[sgprSrdB:sgprSrdB+3], 0, offen offset:3 // load one buffer value
/* g2l=12, load component 4 */
_buffer_load_d16_u8 v[vgprG2LB+12+1], v[vgprGlobalReadOffsetB+3], s[sgprSrdB:sgprSrdB+3], 0, offen offset:4 // load one buffer value
/* g2l=12, load component 5 */
_buffer_load_d16_u8 v111, v[vgprGlobalReadOffsetB+3], s[sgprSrdB:sgprSrdB+3], 0, offen offset:5 // load one buffer value
/* g2l=12, load component 6 */
_buffer_load_d16_hi_u8 v112, v[vgprGlobalReadOffsetB+3], s[sgprSrdB:sgprSrdB+3], 0, offen offset:6 // load one buffer value
/* g2l=12, load component 7 */
_buffer_load_d16_hi_u8 v113, v[vgprGlobalReadOffsetB+3], s[sgprSrdB:sgprSrdB+3], 0, offen offset:7 // load one buffer value
/* g2l=12, load component 8 */
_buffer_load_d16_u8 v[vgprG2LB+12+2], v[vgprGlobalReadOffsetB+3], s[sgprSrdB:sgprSrdB+3], 0, offen offset:8 // load one buffer value
/* g2l=12, load component 9 */
_buffer_load_d16_u8 v115, v[vgprGlobalReadOffsetB+3], s[sgprSrdB:sgprSrdB+3], 0, offen offset:9 // load one buffer value
/* g2l=12, load component 10 */
_buffer_load_d16_hi_u8 v116, v[vgprGlobalReadOffsetB+3], s[sgprSrdB:sgprSrdB+3], 0, offen offset:10 // load one buffer value
/* g2l=12, load component 11 */
_buffer_load_d16_hi_u8 v117, v[vgprGlobalReadOffsetB+3], s[sgprSrdB:sgprSrdB+3], 0, offen offset:11 // load one buffer value
/* g2l=12, load component 12 */
_buffer_load_d16_u8 v[vgprG2LB+12+3], v[vgprGlobalReadOffsetB+3], s[sgprSrdB:sgprSrdB+3], 0, offen offset:12 // load one buffer value
/* g2l=12, load component 13 */
_buffer_load_d16_u8 v119, v[vgprGlobalReadOffsetB+3], s[sgprSrdB:sgprSrdB+3], 0, offen offset:13 // load one buffer value
/* g2l=12, load component 14 */
_buffer_load_d16_hi_u8 v120, v[vgprGlobalReadOffsetB+3], s[sgprSrdB:sgprSrdB+3], 0, offen offset:14 // load one buffer value
/* g2l=12, load component 15 */
_buffer_load_d16_hi_u8 v121, v[vgprGlobalReadOffsetB+3], s[sgprSrdB:sgprSrdB+3], 0, offen offset:15 // load one buffer value
s_waitcnt vmcnt(14)
v_lshlrev_b32 v107, 0x8, v107                      // shift left to higher 8 bits
v_or_b32 v[vgprG2LB+12+0], v[vgprG2LB+12+0], v107  // pack a sub 8-bit with dest
s_waitcnt vmcnt(13)
v_or_b32 v[vgprG2LB+12+0], v[vgprG2LB+12+0], v108  // pack a sub 8-bit with dest
s_waitcnt vmcnt(12)
v_lshlrev_b32 v109, 0x8, v109                      // shift left to higher 8 bits
v_or_b32 v[vgprG2LB+12+0], v[vgprG2LB+12+0], v109  // pack a sub 8-bit with dest
s_waitcnt vmcnt(10)
v_lshlrev_b32 v111, 0x8, v111                      // shift left to higher 8 bits
v_or_b32 v[vgprG2LB+12+1], v[vgprG2LB+12+1], v111  // pack a sub 8-bit with dest
s_waitcnt vmcnt(9)
v_or_b32 v[vgprG2LB+12+1], v[vgprG2LB+12+1], v112  // pack a sub 8-bit with dest
s_waitcnt vmcnt(8)
v_lshlrev_b32 v113, 0x8, v113                      // shift left to higher 8 bits
v_or_b32 v[vgprG2LB+12+1], v[vgprG2LB+12+1], v113  // pack a sub 8-bit with dest
	;; [unrolled: 8-line block ×4, first 2 shown]

s_waitcnt vmcnt(0)                                 // lgkmcnt=-1 vmcnt=02wait for global read

s_waitcnt lgkmcnt(0) & vmcnt(0)                    // force waitcnt0
s_barrier //


/* Done global A/B reads */




/* local write a */

_ds_store_b128 v[vgprLocalWriteAddrA], v[vgprG2LA+0:vgprG2LA+0+3] offset:0 // lwoA_0_0_0_0 = (0*LSCA) + (0*LSPA)(*MT0I+PAD) = 0
_ds_store_b128 v[vgprLocalWriteAddrA], v[vgprG2LA+4:vgprG2LA+4+3] offset:1088 // lwoA_0_0_1_0 = (0*LSCA) + (1*LSPA)(*MT0I+PAD) = 1088


/* local write b */

_ds_store_b128 v[vgprLocalWriteAddrB], v[vgprG2LB+0:vgprG2LB+0+3] offset:0 // lwoB_0_0_0_0 = (0*LSCB)*(MT1J+PAD) + (0*LSPB) = 0
_ds_store_b128 v[vgprLocalWriteAddrB], v[vgprG2LB+4:vgprG2LB+4+3] offset:1152 // lwoB_0_0_1_0 = (0*LSCB)*(MT1J+PAD) + (1*LSPB) = 1152
_ds_store_b128 v[vgprLocalWriteAddrB], v[vgprG2LB+8:vgprG2LB+8+3] offset:2304 // lwoB_0_0_2_0 = (0*LSCB)*(MT1J+PAD) + (2*LSPB) = 2304
_ds_store_b128 v[vgprLocalWriteAddrB], v[vgprG2LB+12:vgprG2LB+12+3] offset:3456 // lwoB_0_0_3_0 = (0*LSCB)*(MT1J+PAD) + (3*LSPB) = 3456


/* Recalc local read offsets */

/*lr0I*/
v_and_b32 v108, 63, v[vgprSerial]                  // 0. thread id in wave: wtid = tid % wavelength(64)
v_and_b32 v107, 31, v108                           // 1. N offset: nIdx = wtid % MI_N(32)
                                                   // 1. N offset: nOffset = nIdx * nStride(1) (multiplier is 1, do nothing)
                                                   // 2. block offset: bnIdx = bnIdx % num1DBlocks(1) is 0. do nothing
                                                   // 4. apply VectorWidth: bnOffset = bnOffset * vw(1) (multiplier is 1, do nothing)
v_lshrrev_b32 v108, 5, v108                        // 5. K offset: kIdx = wtid / (MIN(32) * MIBB(1))
s_mov_b32 s53, 0x220                               // 5. K offset: lrKOffset = kIdx * mStride(544)
v_mul_lo_u32 v108, s53, v108                       // 5. K offset: lrKOffset = kIdx * mStride(544)
_v_add_u32 v107, v108, v107                        // 6. offset in wave: lrOffset = bnOffset + lrKOffset
v_lshrrev_b32 v109, 6, v[vgprSerial]               // 7. wave offset in N dimen: wtid = tid / dividedForWaveId(64)
v_and_b32 v108, 3, v109                            // 7. wave offset in M dimen: wtid0 = wtid / num1DWaves(4)
v_lshlrev_b32 v108, 0x5, v108                      // 7. wave offset in M dimen: wOffset = wtid0 * W0Stride(32)
_v_add_u32 v107, v108, v107                        // 8. final local read offset: flrOffset = lrOffset + WOffset
/*lr1J*/
v_and_b32 v109, 63, v[vgprSerial]                  // 0. thread id in wave: wtid = tid % wavelength(64)
v_and_b32 v108, 31, v109                           // 1. N offset: nIdx = wtid % MI_N(32)
v_lshlrev_b32 v108, 0x6, v108                      // 1. N offset: nOffset = nIdx * nStride(64)
                                                   // 2. block offset: bnIdx = bnIdx % num1DBlocks(1) is 0. do nothing
                                                   // 4. apply VectorWidth: bnOffset = bnOffset * vw(1) (multiplier is 1, do nothing)
v_lshrrev_b32 v109, 5, v109                        // 5. K offset: kIdx = wtid / (MIN(32) * MIBB(1))
v_lshlrev_b32 v109, 0x2, v109                      // 5. K offset: lrKOffset = kIdx * mStride(4)
_v_add_u32 v108, v109, v108                        // 6. offset in wave: lrOffset = bnOffset + lrKOffset
v_lshlrev_b32 v[vgprLocalReadAddrA], 0x0, v107     // Final Offset: offset = (lro0)*bpe
/* N/A */
v_lshlrev_b32 v[vgprLocalReadAddrB], 0x0, v108     // Final Offset: offset = (lro1)*bpe
v_lshrrev_b32 v107, 7, v[vgprLocalReadAddrB]       // Final Offset: padding 16 per block 128
v_lshlrev_b32 v107, 0x4, v107                      // Final Offset: padding 16 per block 128
_v_add_u32 v[vgprLocalReadAddrB], v107, v[vgprLocalReadAddrB] // Final Offset: add padding 16 per block 128
_v_add_co_u32 v[vgprLocalReadAddrB+0], vcc, 0x2200, v[vgprLocalReadAddrB+0] //  += LdsOffsetB (lower)

s_waitcnt lgkmcnt(0)                               // lgkmcnt=0 vmcnt=-15wait for local write

s_waitcnt lgkmcnt(0) & vmcnt(0)                    // force waitcnt0
s_barrier //


/* local read reset offsets a */


	;; [unrolled: 1-line block ×3, first 2 shown]
/* local read reset offsets b */


	;; [unrolled: 1-line block ×3, first 2 shown]
/* local read init pointers a */


/* localReadInitPointers */


/* local read init pointers b */


/* localReadInitPointers */


/* tail loop: macs */

TailLoopBeginL_6:


/* tail loop unroll iter 0 */


/* local read a */

_ds_load_u8 v[vgprValuA_X0_I0+0], v[vgprLocalReadAddrA] offset:0 // L -> Reg lro=0 swapByteOffset=0 ti=128 vIdx=0 rIdx=0 oIdx=0 buffer=0 iui=0
_ds_load_u8 v107, v[vgprLocalReadAddrA] offset:136 // L -> Reg lro=0 swapByteOffset=0 ti=128 vIdx=0 rIdx=1 oIdx=0 buffer=0 iui=0
_ds_load_u8_d16_hi v108, v[vgprLocalReadAddrA] offset:272 // L -> Reg lro=0 swapByteOffset=0 ti=128 vIdx=0 rIdx=2 oIdx=0 buffer=0 iui=0
_ds_load_u8_d16_hi v109, v[vgprLocalReadAddrA] offset:408 // L -> Reg lro=0 swapByteOffset=0 ti=128 vIdx=0 rIdx=3 oIdx=0 buffer=0 iui=0


/* local read b */

_ds_load_b32 v[vgprValuB_X0_I0+0], v[vgprLocalReadAddrB] offset:0 // L -> Reg lro=0 swapByteOffset=0 ti=32 vIdx=0 rIdx=0 oIdx=0 buffer=0 iui=0
_ds_load_b32 v[vgprValuB_X0_I0+1], v[vgprLocalReadAddrB] offset:2304 // L -> Reg lro=0 swapByteOffset=0 ti=32 vIdx=1 rIdx=0 oIdx=0 buffer=0 iui=0
	;; [unrolled: 1-line block ×8, first 2 shown]


/* local read inc a */

s_mov_b32 s53, 0x440                               // inc
_v_add_co_u32 v[vgprLocalReadAddrA], vcc, s53, v[vgprLocalReadAddrA] // lrA += 1088 (LSU*(MT+PAD)*bpe)


/* local read inc b */

s_mov_b32 s53, 0x8                                 // inc
_v_add_co_u32 v[vgprLocalReadAddrB], vcc, s53, v[vgprLocalReadAddrB] // lrB += 8 (LSU*bpe)

s_waitcnt lgkmcnt(0)                               // lgkmcnt=0 vmcnt=-14wait for local read

_v_lshl_or_b32 v[vgprValuA_X0_I0+0], v107, 0x8, v[vgprValuA_X0_I0+0] // pack two int8 Vgpr to one half Vgpr
_v_lshl_or_b32 v108, v109, 0x8, v108               // pack two int8 Vgpr to one half Vgpr
v_or_b32 v[vgprValuA_X0_I0+0], v[vgprValuA_X0_I0+0], v108 // pack two half Vgpr to one Vgpr


/* tail loop mfma iter 0: numReadsIterCoalescedA=1, numReadsIterCoalescedB=1 */
v_and_b32 v107, 63, v[vgprSerial]                  // v107 = v[vgprSerial] % 64
v_lshrrev_b32 v107, 5, v107                        // v107 = v107 / 32
v_lshlrev_b32 v107, 0x2, v107                      // v107 = v107 * 4
v_cmp_ge_i32 s[54:55], v107, s[sgprLoopCounterL]   // check K index >= Size L
v_cndmask_b32 v[vgprValuB_X0_I0+0+0+0+0], v[vgprValuB_X0_I0+0+0+0+0], 0x0, s[54:55] // set 0 if K_idx >= sizeL
v_cndmask_b32 v[vgprValuB_X0_I0+1+0+0+0], v[vgprValuB_X0_I0+1+0+0+0], 0x0, s[54:55] // set 0 if K_idx >= sizeL
	;; [unrolled: 1-line block ×8, first 2 shown]
_v_sub_u32 v107, s[sgprLoopCounterL], v107         // get distance between size and k index
v_cmp_lt_i32 s[54:55], v107, 4                     // set partial 0 if distance less than input per thread
s_and_b32 s56, s[sgprLoopCounterL], 3              // get inputs for edge thread
s_sub_u32 s56, 4, s56                              // use shift to fill 0 for outside element
s_lshl_b32 s56, s56, 3                             // use shift to fill 0 for outside element
v_mov_b32 v108, -1                                 // set 0xffffffff
v_lshrrev_b32 v108, s56, v108                      // rshift mask for partial k
v_cndmask_b32 v108, -1, v108, s[54:55]             // select shifted mask for partial k
v_and_b32 v[vgprValuB_X0_I0+0+0+0+0], v[vgprValuB_X0_I0+0+0+0+0], v108 // 
v_and_b32 v[vgprValuB_X0_I0+1+0+0+0], v[vgprValuB_X0_I0+1+0+0+0], v108 // 
	;; [unrolled: 1-line block ×8, first 2 shown]
s_nop 1
v_mfma_i32_32x32x8i8 a[0+0:15+0], v[vgprValuA_X0_I0+0+0+0], v[vgprValuB_X0_I0+0+0+0], a[0:15]
v_mfma_i32_32x32x8i8 a[16+0:31+0], v[vgprValuA_X0_I0+0+0+0], v[vgprValuB_X0_I0+1+0+0], a[16:31]
v_mfma_i32_32x32x8i8 a[32+0:47+0], v[vgprValuA_X0_I0+0+0+0], v[vgprValuB_X0_I0+2+0+0], a[32:47]
v_mfma_i32_32x32x8i8 a[48+0:63+0], v[vgprValuA_X0_I0+0+0+0], v[vgprValuB_X0_I0+3+0+0], a[48:63]
v_mfma_i32_32x32x8i8 a[64+0:79+0], v[vgprValuA_X0_I0+0+0+0], v[vgprValuB_X0_I0+4+0+0], a[64:79]
v_mfma_i32_32x32x8i8 a[80+0:95+0], v[vgprValuA_X0_I0+0+0+0], v[vgprValuB_X0_I0+5+0+0], a[80:95]
v_mfma_i32_32x32x8i8 a[96+0:111+0], v[vgprValuA_X0_I0+0+0+0], v[vgprValuB_X0_I0+6+0+0], a[96:111]
v_mfma_i32_32x32x8i8 a[112+0:127+0], v[vgprValuA_X0_I0+0+0+0], v[vgprValuB_X0_I0+7+0+0], a[112:127]


/* closeLoop loopL finalLoop=0 tailLoop=1 */
s_sub_i32 s[sgprLoopCounterL], s[sgprLoopCounterL], 0x8 // dec counterL (tailLoop)
s_add_u32 s[sgprOrigLoopCounter], s[sgprOrigLoopCounter], 0x8 // inc counterL
s_cmp_le_i32 s[sgprLoopCounterL], 0x0              // counterL<=0
s_cbranch_scc1 TailLoopEndL_7                      // exit LoopL


/* tail loop unroll iter 1 */


/* local read a */

_ds_load_u8 v[vgprValuA_X1_I0+0], v[vgprLocalReadAddrA] offset:0 // L -> Reg lro=0 swapByteOffset=0 ti=128 vIdx=0 rIdx=0 oIdx=0 buffer=1 iui=0
_ds_load_u8 v107, v[vgprLocalReadAddrA] offset:136 // L -> Reg lro=0 swapByteOffset=0 ti=128 vIdx=0 rIdx=1 oIdx=0 buffer=1 iui=0
_ds_load_u8_d16_hi v108, v[vgprLocalReadAddrA] offset:272 // L -> Reg lro=0 swapByteOffset=0 ti=128 vIdx=0 rIdx=2 oIdx=0 buffer=1 iui=0
_ds_load_u8_d16_hi v109, v[vgprLocalReadAddrA] offset:408 // L -> Reg lro=0 swapByteOffset=0 ti=128 vIdx=0 rIdx=3 oIdx=0 buffer=1 iui=0


/* local read b */

_ds_load_b32 v[vgprValuB_X1_I0+0], v[vgprLocalReadAddrB] offset:0 // L -> Reg lro=0 swapByteOffset=0 ti=32 vIdx=0 rIdx=0 oIdx=0 buffer=1 iui=0
_ds_load_b32 v[vgprValuB_X1_I0+1], v[vgprLocalReadAddrB] offset:2304 // L -> Reg lro=0 swapByteOffset=0 ti=32 vIdx=1 rIdx=0 oIdx=0 buffer=1 iui=0
	;; [unrolled: 1-line block ×8, first 2 shown]


/* local read inc a */

s_mov_b32 s53, 0x440                               // inc
_v_add_co_u32 v[vgprLocalReadAddrA], vcc, s53, v[vgprLocalReadAddrA] // lrA += 1088 (LSU*(MT+PAD)*bpe)


/* local read inc b */

s_mov_b32 s53, 0x8                                 // inc
_v_add_co_u32 v[vgprLocalReadAddrB], vcc, s53, v[vgprLocalReadAddrB] // lrB += 8 (LSU*bpe)

s_waitcnt lgkmcnt(0)                               // lgkmcnt=0 vmcnt=-14wait for local read

_v_lshl_or_b32 v[vgprValuA_X1_I0+0], v107, 0x8, v[vgprValuA_X1_I0+0] // pack two int8 Vgpr to one half Vgpr
_v_lshl_or_b32 v108, v109, 0x8, v108               // pack two int8 Vgpr to one half Vgpr
v_or_b32 v[vgprValuA_X1_I0+0], v[vgprValuA_X1_I0+0], v108 // pack two half Vgpr to one Vgpr


/* tail loop mfma iter 1: numReadsIterCoalescedA=1, numReadsIterCoalescedB=1 */
v_and_b32 v107, 63, v[vgprSerial]                  // v107 = v[vgprSerial] % 64
v_lshrrev_b32 v107, 5, v107                        // v107 = v107 / 32
v_lshlrev_b32 v107, 0x2, v107                      // v107 = v107 * 4
v_cmp_ge_i32 s[54:55], v107, s[sgprLoopCounterL]   // check K index >= Size L
v_cndmask_b32 v[vgprValuB_X1_I0+0+0+0+0], v[vgprValuB_X1_I0+0+0+0+0], 0x0, s[54:55] // set 0 if K_idx >= sizeL
v_cndmask_b32 v[vgprValuB_X1_I0+1+0+0+0], v[vgprValuB_X1_I0+1+0+0+0], 0x0, s[54:55] // set 0 if K_idx >= sizeL
	;; [unrolled: 1-line block ×8, first 2 shown]
_v_sub_u32 v107, s[sgprLoopCounterL], v107         // get distance between size and k index
v_cmp_lt_i32 s[54:55], v107, 4                     // set partial 0 if distance less than input per thread
s_and_b32 s56, s[sgprLoopCounterL], 3              // get inputs for edge thread
s_sub_u32 s56, 4, s56                              // use shift to fill 0 for outside element
s_lshl_b32 s56, s56, 3                             // use shift to fill 0 for outside element
v_mov_b32 v108, -1                                 // set 0xffffffff
v_lshrrev_b32 v108, s56, v108                      // rshift mask for partial k
v_cndmask_b32 v108, -1, v108, s[54:55]             // select shifted mask for partial k
v_and_b32 v[vgprValuB_X1_I0+0+0+0+0], v[vgprValuB_X1_I0+0+0+0+0], v108 // 
v_and_b32 v[vgprValuB_X1_I0+1+0+0+0], v[vgprValuB_X1_I0+1+0+0+0], v108 // 
	;; [unrolled: 1-line block ×8, first 2 shown]
s_nop 1
v_mfma_i32_32x32x8i8 a[0+0:15+0], v[vgprValuA_X1_I0+0+0+0], v[vgprValuB_X1_I0+0+0+0], a[0:15]
v_mfma_i32_32x32x8i8 a[16+0:31+0], v[vgprValuA_X1_I0+0+0+0], v[vgprValuB_X1_I0+1+0+0], a[16:31]
	;; [unrolled: 1-line block ×8, first 2 shown]


/* closeLoop loopL finalLoop=0 tailLoop=1 */
s_sub_i32 s[sgprLoopCounterL], s[sgprLoopCounterL], 0x8 // dec counterL (tailLoop)
s_add_u32 s[sgprOrigLoopCounter], s[sgprOrigLoopCounter], 0x8 // inc counterL
s_cmp_le_i32 s[sgprLoopCounterL], 0x0              // counterL<=0
s_cbranch_scc1 TailLoopEndL_7                      // exit LoopL


/* tail loop unroll iter 2 */


/* local read a */

_ds_load_u8 v[vgprValuA_X2_I0+0], v[vgprLocalReadAddrA] offset:0 // L -> Reg lro=0 swapByteOffset=0 ti=128 vIdx=0 rIdx=0 oIdx=0 buffer=2 iui=0
_ds_load_u8 v107, v[vgprLocalReadAddrA] offset:136 // L -> Reg lro=0 swapByteOffset=0 ti=128 vIdx=0 rIdx=1 oIdx=0 buffer=2 iui=0
_ds_load_u8_d16_hi v108, v[vgprLocalReadAddrA] offset:272 // L -> Reg lro=0 swapByteOffset=0 ti=128 vIdx=0 rIdx=2 oIdx=0 buffer=2 iui=0
_ds_load_u8_d16_hi v109, v[vgprLocalReadAddrA] offset:408 // L -> Reg lro=0 swapByteOffset=0 ti=128 vIdx=0 rIdx=3 oIdx=0 buffer=2 iui=0


/* local read b */

_ds_load_b32 v[vgprValuB_X2_I0+0], v[vgprLocalReadAddrB] offset:0 // L -> Reg lro=0 swapByteOffset=0 ti=32 vIdx=0 rIdx=0 oIdx=0 buffer=2 iui=0
_ds_load_b32 v[vgprValuB_X2_I0+1], v[vgprLocalReadAddrB] offset:2304 // L -> Reg lro=0 swapByteOffset=0 ti=32 vIdx=1 rIdx=0 oIdx=0 buffer=2 iui=0
	;; [unrolled: 1-line block ×8, first 2 shown]


/* local read inc a */

s_mov_b32 s53, 0x440                               // inc
_v_add_co_u32 v[vgprLocalReadAddrA], vcc, s53, v[vgprLocalReadAddrA] // lrA += 1088 (LSU*(MT+PAD)*bpe)


/* local read inc b */

s_mov_b32 s53, 0x8                                 // inc
_v_add_co_u32 v[vgprLocalReadAddrB], vcc, s53, v[vgprLocalReadAddrB] // lrB += 8 (LSU*bpe)

s_waitcnt lgkmcnt(0)                               // lgkmcnt=0 vmcnt=-14wait for local read

_v_lshl_or_b32 v[vgprValuA_X2_I0+0], v107, 0x8, v[vgprValuA_X2_I0+0] // pack two int8 Vgpr to one half Vgpr
_v_lshl_or_b32 v108, v109, 0x8, v108               // pack two int8 Vgpr to one half Vgpr
v_or_b32 v[vgprValuA_X2_I0+0], v[vgprValuA_X2_I0+0], v108 // pack two half Vgpr to one Vgpr


/* tail loop mfma iter 2: numReadsIterCoalescedA=1, numReadsIterCoalescedB=1 */
v_and_b32 v107, 63, v[vgprSerial]                  // v107 = v[vgprSerial] % 64
v_lshrrev_b32 v107, 5, v107                        // v107 = v107 / 32
v_lshlrev_b32 v107, 0x2, v107                      // v107 = v107 * 4
v_cmp_ge_i32 s[54:55], v107, s[sgprLoopCounterL]   // check K index >= Size L
v_cndmask_b32 v[vgprValuB_X2_I0+0+0+0+0], v[vgprValuB_X2_I0+0+0+0+0], 0x0, s[54:55] // set 0 if K_idx >= sizeL
v_cndmask_b32 v[vgprValuB_X2_I0+1+0+0+0], v[vgprValuB_X2_I0+1+0+0+0], 0x0, s[54:55] // set 0 if K_idx >= sizeL
	;; [unrolled: 1-line block ×8, first 2 shown]
_v_sub_u32 v107, s[sgprLoopCounterL], v107         // get distance between size and k index
v_cmp_lt_i32 s[54:55], v107, 4                     // set partial 0 if distance less than input per thread
s_and_b32 s56, s[sgprLoopCounterL], 3              // get inputs for edge thread
s_sub_u32 s56, 4, s56                              // use shift to fill 0 for outside element
s_lshl_b32 s56, s56, 3                             // use shift to fill 0 for outside element
v_mov_b32 v108, -1                                 // set 0xffffffff
v_lshrrev_b32 v108, s56, v108                      // rshift mask for partial k
v_cndmask_b32 v108, -1, v108, s[54:55]             // select shifted mask for partial k
v_and_b32 v[vgprValuB_X2_I0+0+0+0+0], v[vgprValuB_X2_I0+0+0+0+0], v108 // 
v_and_b32 v[vgprValuB_X2_I0+1+0+0+0], v[vgprValuB_X2_I0+1+0+0+0], v108 // 
	;; [unrolled: 1-line block ×8, first 2 shown]
s_nop 1
v_mfma_i32_32x32x8i8 a[0+0:15+0], v[vgprValuA_X2_I0+0+0+0], v[vgprValuB_X2_I0+0+0+0], a[0:15]
v_mfma_i32_32x32x8i8 a[16+0:31+0], v[vgprValuA_X2_I0+0+0+0], v[vgprValuB_X2_I0+1+0+0], a[16:31]
	;; [unrolled: 1-line block ×8, first 2 shown]


/* closeLoop loopL finalLoop=0 tailLoop=1 */
s_sub_i32 s[sgprLoopCounterL], s[sgprLoopCounterL], 0x8 // dec counterL (tailLoop)
s_add_u32 s[sgprOrigLoopCounter], s[sgprOrigLoopCounter], 0x8 // inc counterL
s_cmp_le_i32 s[sgprLoopCounterL], 0x0              // counterL<=0
s_cbranch_scc1 TailLoopEndL_7                      // exit LoopL


/* tail loop unroll iter 3 */


/* local read a */

_ds_load_u8 v[vgprValuA_X3_I0+0], v[vgprLocalReadAddrA] offset:0 // L -> Reg lro=0 swapByteOffset=0 ti=128 vIdx=0 rIdx=0 oIdx=0 buffer=3 iui=0
_ds_load_u8 v107, v[vgprLocalReadAddrA] offset:136 // L -> Reg lro=0 swapByteOffset=0 ti=128 vIdx=0 rIdx=1 oIdx=0 buffer=3 iui=0
_ds_load_u8_d16_hi v108, v[vgprLocalReadAddrA] offset:272 // L -> Reg lro=0 swapByteOffset=0 ti=128 vIdx=0 rIdx=2 oIdx=0 buffer=3 iui=0
_ds_load_u8_d16_hi v109, v[vgprLocalReadAddrA] offset:408 // L -> Reg lro=0 swapByteOffset=0 ti=128 vIdx=0 rIdx=3 oIdx=0 buffer=3 iui=0


/* local read b */

_ds_load_b32 v[vgprValuB_X3_I0+0], v[vgprLocalReadAddrB] offset:0 // L -> Reg lro=0 swapByteOffset=0 ti=32 vIdx=0 rIdx=0 oIdx=0 buffer=3 iui=0
_ds_load_b32 v[vgprValuB_X3_I0+1], v[vgprLocalReadAddrB] offset:2304 // L -> Reg lro=0 swapByteOffset=0 ti=32 vIdx=1 rIdx=0 oIdx=0 buffer=3 iui=0
	;; [unrolled: 1-line block ×8, first 2 shown]


/* local read inc a */

s_mov_b32 s53, 0x440                               // inc
_v_add_co_u32 v[vgprLocalReadAddrA], vcc, s53, v[vgprLocalReadAddrA] // lrA += 1088 (LSU*(MT+PAD)*bpe)


/* local read inc b */

s_mov_b32 s53, 0x8                                 // inc
_v_add_co_u32 v[vgprLocalReadAddrB], vcc, s53, v[vgprLocalReadAddrB] // lrB += 8 (LSU*bpe)

s_waitcnt lgkmcnt(0)                               // lgkmcnt=0 vmcnt=-14wait for local read

_v_lshl_or_b32 v[vgprValuA_X3_I0+0], v107, 0x8, v[vgprValuA_X3_I0+0] // pack two int8 Vgpr to one half Vgpr
_v_lshl_or_b32 v108, v109, 0x8, v108               // pack two int8 Vgpr to one half Vgpr
v_or_b32 v[vgprValuA_X3_I0+0], v[vgprValuA_X3_I0+0], v108 // pack two half Vgpr to one Vgpr


/* tail loop mfma iter 3: numReadsIterCoalescedA=1, numReadsIterCoalescedB=1 */
v_and_b32 v107, 63, v[vgprSerial]                  // v107 = v[vgprSerial] % 64
v_lshrrev_b32 v107, 5, v107                        // v107 = v107 / 32
v_lshlrev_b32 v107, 0x2, v107                      // v107 = v107 * 4
v_cmp_ge_i32 s[54:55], v107, s[sgprLoopCounterL]   // check K index >= Size L
v_cndmask_b32 v[vgprValuB_X3_I0+0+0+0+0], v[vgprValuB_X3_I0+0+0+0+0], 0x0, s[54:55] // set 0 if K_idx >= sizeL
v_cndmask_b32 v[vgprValuB_X3_I0+1+0+0+0], v[vgprValuB_X3_I0+1+0+0+0], 0x0, s[54:55] // set 0 if K_idx >= sizeL
	;; [unrolled: 1-line block ×8, first 2 shown]
_v_sub_u32 v107, s[sgprLoopCounterL], v107         // get distance between size and k index
v_cmp_lt_i32 s[54:55], v107, 4                     // set partial 0 if distance less than input per thread
s_and_b32 s56, s[sgprLoopCounterL], 3              // get inputs for edge thread
s_sub_u32 s56, 4, s56                              // use shift to fill 0 for outside element
s_lshl_b32 s56, s56, 3                             // use shift to fill 0 for outside element
v_mov_b32 v108, -1                                 // set 0xffffffff
v_lshrrev_b32 v108, s56, v108                      // rshift mask for partial k
v_cndmask_b32 v108, -1, v108, s[54:55]             // select shifted mask for partial k
v_and_b32 v[vgprValuB_X3_I0+0+0+0+0], v[vgprValuB_X3_I0+0+0+0+0], v108 // 
v_and_b32 v[vgprValuB_X3_I0+1+0+0+0], v[vgprValuB_X3_I0+1+0+0+0], v108 // 
	;; [unrolled: 1-line block ×8, first 2 shown]
s_nop 1
v_mfma_i32_32x32x8i8 a[0+0:15+0], v[vgprValuA_X3_I0+0+0+0], v[vgprValuB_X3_I0+0+0+0], a[0:15]
v_mfma_i32_32x32x8i8 a[16+0:31+0], v[vgprValuA_X3_I0+0+0+0], v[vgprValuB_X3_I0+1+0+0], a[16:31]
	;; [unrolled: 1-line block ×8, first 2 shown]


/* closeLoop loopL finalLoop=0 tailLoop=1 */
s_sub_i32 s[sgprLoopCounterL], s[sgprLoopCounterL], 0x8 // dec counterL (tailLoop)
s_add_u32 s[sgprOrigLoopCounter], s[sgprOrigLoopCounter], 0x8 // inc counterL
s_cmp_le_i32 s[sgprLoopCounterL], 0x0              // counterL<=0
s_cbranch_scc1 TailLoopEndL_7                      // exit LoopL


/* tail loop unroll iter 4 */


/* local read a */

_ds_load_u8 v[vgprValuA_X4_I0+0], v[vgprLocalReadAddrA] offset:0 // L -> Reg lro=0 swapByteOffset=0 ti=128 vIdx=0 rIdx=0 oIdx=0 buffer=4 iui=0
_ds_load_u8 v107, v[vgprLocalReadAddrA] offset:136 // L -> Reg lro=0 swapByteOffset=0 ti=128 vIdx=0 rIdx=1 oIdx=0 buffer=4 iui=0
_ds_load_u8_d16_hi v108, v[vgprLocalReadAddrA] offset:272 // L -> Reg lro=0 swapByteOffset=0 ti=128 vIdx=0 rIdx=2 oIdx=0 buffer=4 iui=0
_ds_load_u8_d16_hi v109, v[vgprLocalReadAddrA] offset:408 // L -> Reg lro=0 swapByteOffset=0 ti=128 vIdx=0 rIdx=3 oIdx=0 buffer=4 iui=0


/* local read b */

_ds_load_b32 v[vgprValuB_X4_I0+0], v[vgprLocalReadAddrB] offset:0 // L -> Reg lro=0 swapByteOffset=0 ti=32 vIdx=0 rIdx=0 oIdx=0 buffer=4 iui=0
_ds_load_b32 v[vgprValuB_X4_I0+1], v[vgprLocalReadAddrB] offset:2304 // L -> Reg lro=0 swapByteOffset=0 ti=32 vIdx=1 rIdx=0 oIdx=0 buffer=4 iui=0
	;; [unrolled: 1-line block ×8, first 2 shown]


/* local read inc a */

s_mov_b32 s53, 0x440                               // inc
_v_add_co_u32 v[vgprLocalReadAddrA], vcc, s53, v[vgprLocalReadAddrA] // lrA += 1088 (LSU*(MT+PAD)*bpe)


/* local read inc b */

s_mov_b32 s53, 0x8                                 // inc
_v_add_co_u32 v[vgprLocalReadAddrB], vcc, s53, v[vgprLocalReadAddrB] // lrB += 8 (LSU*bpe)

s_waitcnt lgkmcnt(0)                               // lgkmcnt=0 vmcnt=-14wait for local read

_v_lshl_or_b32 v[vgprValuA_X4_I0+0], v107, 0x8, v[vgprValuA_X4_I0+0] // pack two int8 Vgpr to one half Vgpr
_v_lshl_or_b32 v108, v109, 0x8, v108               // pack two int8 Vgpr to one half Vgpr
v_or_b32 v[vgprValuA_X4_I0+0], v[vgprValuA_X4_I0+0], v108 // pack two half Vgpr to one Vgpr


/* tail loop mfma iter 4: numReadsIterCoalescedA=1, numReadsIterCoalescedB=1 */
v_and_b32 v107, 63, v[vgprSerial]                  // v107 = v[vgprSerial] % 64
v_lshrrev_b32 v107, 5, v107                        // v107 = v107 / 32
v_lshlrev_b32 v107, 0x2, v107                      // v107 = v107 * 4
v_cmp_ge_i32 s[54:55], v107, s[sgprLoopCounterL]   // check K index >= Size L
v_cndmask_b32 v[vgprValuB_X4_I0+0+0+0+0], v[vgprValuB_X4_I0+0+0+0+0], 0x0, s[54:55] // set 0 if K_idx >= sizeL
v_cndmask_b32 v[vgprValuB_X4_I0+1+0+0+0], v[vgprValuB_X4_I0+1+0+0+0], 0x0, s[54:55] // set 0 if K_idx >= sizeL
	;; [unrolled: 1-line block ×8, first 2 shown]
_v_sub_u32 v107, s[sgprLoopCounterL], v107         // get distance between size and k index
v_cmp_lt_i32 s[54:55], v107, 4                     // set partial 0 if distance less than input per thread
s_and_b32 s56, s[sgprLoopCounterL], 3              // get inputs for edge thread
s_sub_u32 s56, 4, s56                              // use shift to fill 0 for outside element
s_lshl_b32 s56, s56, 3                             // use shift to fill 0 for outside element
v_mov_b32 v108, -1                                 // set 0xffffffff
v_lshrrev_b32 v108, s56, v108                      // rshift mask for partial k
v_cndmask_b32 v108, -1, v108, s[54:55]             // select shifted mask for partial k
v_and_b32 v[vgprValuB_X4_I0+0+0+0+0], v[vgprValuB_X4_I0+0+0+0+0], v108 // 
v_and_b32 v[vgprValuB_X4_I0+1+0+0+0], v[vgprValuB_X4_I0+1+0+0+0], v108 // 
	;; [unrolled: 1-line block ×8, first 2 shown]
s_nop 1
v_mfma_i32_32x32x8i8 a[0+0:15+0], v[vgprValuA_X4_I0+0+0+0], v[vgprValuB_X4_I0+0+0+0], a[0:15]
v_mfma_i32_32x32x8i8 a[16+0:31+0], v[vgprValuA_X4_I0+0+0+0], v[vgprValuB_X4_I0+1+0+0], a[16:31]
	;; [unrolled: 1-line block ×8, first 2 shown]


/* closeLoop loopL finalLoop=0 tailLoop=1 */
s_sub_i32 s[sgprLoopCounterL], s[sgprLoopCounterL], 0x8 // dec counterL (tailLoop)
s_add_u32 s[sgprOrigLoopCounter], s[sgprOrigLoopCounter], 0x8 // inc counterL
s_cmp_le_i32 s[sgprLoopCounterL], 0x0              // counterL<=0
s_cbranch_scc1 TailLoopEndL_7                      // exit LoopL


/* tail loop unroll iter 5 */


/* local read a */

_ds_load_u8 v[vgprValuA_X5_I0+0], v[vgprLocalReadAddrA] offset:0 // L -> Reg lro=0 swapByteOffset=0 ti=128 vIdx=0 rIdx=0 oIdx=0 buffer=5 iui=0
_ds_load_u8 v107, v[vgprLocalReadAddrA] offset:136 // L -> Reg lro=0 swapByteOffset=0 ti=128 vIdx=0 rIdx=1 oIdx=0 buffer=5 iui=0
_ds_load_u8_d16_hi v108, v[vgprLocalReadAddrA] offset:272 // L -> Reg lro=0 swapByteOffset=0 ti=128 vIdx=0 rIdx=2 oIdx=0 buffer=5 iui=0
_ds_load_u8_d16_hi v109, v[vgprLocalReadAddrA] offset:408 // L -> Reg lro=0 swapByteOffset=0 ti=128 vIdx=0 rIdx=3 oIdx=0 buffer=5 iui=0


/* local read b */

_ds_load_b32 v[vgprValuB_X5_I0+0], v[vgprLocalReadAddrB] offset:0 // L -> Reg lro=0 swapByteOffset=0 ti=32 vIdx=0 rIdx=0 oIdx=0 buffer=5 iui=0
_ds_load_b32 v[vgprValuB_X5_I0+1], v[vgprLocalReadAddrB] offset:2304 // L -> Reg lro=0 swapByteOffset=0 ti=32 vIdx=1 rIdx=0 oIdx=0 buffer=5 iui=0
	;; [unrolled: 1-line block ×8, first 2 shown]


/* local read inc a */

s_mov_b32 s53, 0x440                               // inc
_v_add_co_u32 v[vgprLocalReadAddrA], vcc, s53, v[vgprLocalReadAddrA] // lrA += 1088 (LSU*(MT+PAD)*bpe)


/* local read inc b */

s_mov_b32 s53, 0x8                                 // inc
_v_add_co_u32 v[vgprLocalReadAddrB], vcc, s53, v[vgprLocalReadAddrB] // lrB += 8 (LSU*bpe)

s_waitcnt lgkmcnt(0)                               // lgkmcnt=0 vmcnt=-14wait for local read

_v_lshl_or_b32 v[vgprValuA_X5_I0+0], v107, 0x8, v[vgprValuA_X5_I0+0] // pack two int8 Vgpr to one half Vgpr
_v_lshl_or_b32 v108, v109, 0x8, v108               // pack two int8 Vgpr to one half Vgpr
v_or_b32 v[vgprValuA_X5_I0+0], v[vgprValuA_X5_I0+0], v108 // pack two half Vgpr to one Vgpr


/* tail loop mfma iter 5: numReadsIterCoalescedA=1, numReadsIterCoalescedB=1 */
v_and_b32 v107, 63, v[vgprSerial]                  // v107 = v[vgprSerial] % 64
v_lshrrev_b32 v107, 5, v107                        // v107 = v107 / 32
v_lshlrev_b32 v107, 0x2, v107                      // v107 = v107 * 4
v_cmp_ge_i32 s[54:55], v107, s[sgprLoopCounterL]   // check K index >= Size L
v_cndmask_b32 v[vgprValuB_X5_I0+0+0+0+0], v[vgprValuB_X5_I0+0+0+0+0], 0x0, s[54:55] // set 0 if K_idx >= sizeL
v_cndmask_b32 v[vgprValuB_X5_I0+1+0+0+0], v[vgprValuB_X5_I0+1+0+0+0], 0x0, s[54:55] // set 0 if K_idx >= sizeL
	;; [unrolled: 1-line block ×8, first 2 shown]
_v_sub_u32 v107, s[sgprLoopCounterL], v107         // get distance between size and k index
v_cmp_lt_i32 s[54:55], v107, 4                     // set partial 0 if distance less than input per thread
s_and_b32 s56, s[sgprLoopCounterL], 3              // get inputs for edge thread
s_sub_u32 s56, 4, s56                              // use shift to fill 0 for outside element
s_lshl_b32 s56, s56, 3                             // use shift to fill 0 for outside element
v_mov_b32 v108, -1                                 // set 0xffffffff
v_lshrrev_b32 v108, s56, v108                      // rshift mask for partial k
v_cndmask_b32 v108, -1, v108, s[54:55]             // select shifted mask for partial k
v_and_b32 v[vgprValuB_X5_I0+0+0+0+0], v[vgprValuB_X5_I0+0+0+0+0], v108 // 
v_and_b32 v[vgprValuB_X5_I0+1+0+0+0], v[vgprValuB_X5_I0+1+0+0+0], v108 // 
	;; [unrolled: 1-line block ×8, first 2 shown]
s_nop 1
v_mfma_i32_32x32x8i8 a[0+0:15+0], v[vgprValuA_X5_I0+0+0+0], v[vgprValuB_X5_I0+0+0+0], a[0:15]
v_mfma_i32_32x32x8i8 a[16+0:31+0], v[vgprValuA_X5_I0+0+0+0], v[vgprValuB_X5_I0+1+0+0], a[16:31]
	;; [unrolled: 1-line block ×8, first 2 shown]


/* closeLoop loopL finalLoop=0 tailLoop=1 */
s_sub_i32 s[sgprLoopCounterL], s[sgprLoopCounterL], 0x8 // dec counterL (tailLoop)
s_add_u32 s[sgprOrigLoopCounter], s[sgprOrigLoopCounter], 0x8 // inc counterL
s_cmp_le_i32 s[sgprLoopCounterL], 0x0              // counterL<=0
s_cbranch_scc1 TailLoopEndL_7                      // exit LoopL


/* tail loop unroll iter 6 */


/* local read a */

_ds_load_u8 v[vgprValuA_X6_I0+0], v[vgprLocalReadAddrA] offset:0 // L -> Reg lro=0 swapByteOffset=0 ti=128 vIdx=0 rIdx=0 oIdx=0 buffer=6 iui=0
_ds_load_u8 v107, v[vgprLocalReadAddrA] offset:136 // L -> Reg lro=0 swapByteOffset=0 ti=128 vIdx=0 rIdx=1 oIdx=0 buffer=6 iui=0
_ds_load_u8_d16_hi v108, v[vgprLocalReadAddrA] offset:272 // L -> Reg lro=0 swapByteOffset=0 ti=128 vIdx=0 rIdx=2 oIdx=0 buffer=6 iui=0
_ds_load_u8_d16_hi v109, v[vgprLocalReadAddrA] offset:408 // L -> Reg lro=0 swapByteOffset=0 ti=128 vIdx=0 rIdx=3 oIdx=0 buffer=6 iui=0


/* local read b */

_ds_load_b32 v[vgprValuB_X6_I0+0], v[vgprLocalReadAddrB] offset:0 // L -> Reg lro=0 swapByteOffset=0 ti=32 vIdx=0 rIdx=0 oIdx=0 buffer=6 iui=0
_ds_load_b32 v[vgprValuB_X6_I0+1], v[vgprLocalReadAddrB] offset:2304 // L -> Reg lro=0 swapByteOffset=0 ti=32 vIdx=1 rIdx=0 oIdx=0 buffer=6 iui=0
	;; [unrolled: 1-line block ×8, first 2 shown]


/* local read inc a */

s_mov_b32 s53, 0x440                               // inc
_v_add_co_u32 v[vgprLocalReadAddrA], vcc, s53, v[vgprLocalReadAddrA] // lrA += 1088 (LSU*(MT+PAD)*bpe)


/* local read inc b */

s_mov_b32 s53, 0x8                                 // inc
_v_add_co_u32 v[vgprLocalReadAddrB], vcc, s53, v[vgprLocalReadAddrB] // lrB += 8 (LSU*bpe)

s_waitcnt lgkmcnt(0)                               // lgkmcnt=0 vmcnt=-14wait for local read

_v_lshl_or_b32 v[vgprValuA_X6_I0+0], v107, 0x8, v[vgprValuA_X6_I0+0] // pack two int8 Vgpr to one half Vgpr
_v_lshl_or_b32 v108, v109, 0x8, v108               // pack two int8 Vgpr to one half Vgpr
v_or_b32 v[vgprValuA_X6_I0+0], v[vgprValuA_X6_I0+0], v108 // pack two half Vgpr to one Vgpr


/* tail loop mfma iter 6: numReadsIterCoalescedA=1, numReadsIterCoalescedB=1 */
v_and_b32 v107, 63, v[vgprSerial]                  // v107 = v[vgprSerial] % 64
v_lshrrev_b32 v107, 5, v107                        // v107 = v107 / 32
v_lshlrev_b32 v107, 0x2, v107                      // v107 = v107 * 4
v_cmp_ge_i32 s[54:55], v107, s[sgprLoopCounterL]   // check K index >= Size L
v_cndmask_b32 v[vgprValuB_X6_I0+0+0+0+0], v[vgprValuB_X6_I0+0+0+0+0], 0x0, s[54:55] // set 0 if K_idx >= sizeL
v_cndmask_b32 v[vgprValuB_X6_I0+1+0+0+0], v[vgprValuB_X6_I0+1+0+0+0], 0x0, s[54:55] // set 0 if K_idx >= sizeL
	;; [unrolled: 1-line block ×8, first 2 shown]
_v_sub_u32 v107, s[sgprLoopCounterL], v107         // get distance between size and k index
v_cmp_lt_i32 s[54:55], v107, 4                     // set partial 0 if distance less than input per thread
s_and_b32 s56, s[sgprLoopCounterL], 3              // get inputs for edge thread
s_sub_u32 s56, 4, s56                              // use shift to fill 0 for outside element
s_lshl_b32 s56, s56, 3                             // use shift to fill 0 for outside element
v_mov_b32 v108, -1                                 // set 0xffffffff
v_lshrrev_b32 v108, s56, v108                      // rshift mask for partial k
v_cndmask_b32 v108, -1, v108, s[54:55]             // select shifted mask for partial k
v_and_b32 v[vgprValuB_X6_I0+0+0+0+0], v[vgprValuB_X6_I0+0+0+0+0], v108 // 
v_and_b32 v[vgprValuB_X6_I0+1+0+0+0], v[vgprValuB_X6_I0+1+0+0+0], v108 // 
	;; [unrolled: 1-line block ×8, first 2 shown]
s_nop 1
v_mfma_i32_32x32x8i8 a[0+0:15+0], v[vgprValuA_X6_I0+0+0+0], v[vgprValuB_X6_I0+0+0+0], a[0:15]
v_mfma_i32_32x32x8i8 a[16+0:31+0], v[vgprValuA_X6_I0+0+0+0], v[vgprValuB_X6_I0+1+0+0], a[16:31]
	;; [unrolled: 1-line block ×8, first 2 shown]


/* closeLoop loopL finalLoop=0 tailLoop=1 */
s_sub_i32 s[sgprLoopCounterL], s[sgprLoopCounterL], 0x8 // dec counterL (tailLoop)
s_add_u32 s[sgprOrigLoopCounter], s[sgprOrigLoopCounter], 0x8 // inc counterL
s_cmp_le_i32 s[sgprLoopCounterL], 0x0              // counterL<=0
s_cbranch_scc1 TailLoopEndL_7                      // exit LoopL


/* tail loop unroll iter 7 */


/* local read a */

_ds_load_u8 v[vgprValuA_X7_I0+0], v[vgprLocalReadAddrA] offset:0 // L -> Reg lro=0 swapByteOffset=0 ti=128 vIdx=0 rIdx=0 oIdx=0 buffer=7 iui=0
_ds_load_u8 v107, v[vgprLocalReadAddrA] offset:136 // L -> Reg lro=0 swapByteOffset=0 ti=128 vIdx=0 rIdx=1 oIdx=0 buffer=7 iui=0
_ds_load_u8_d16_hi v108, v[vgprLocalReadAddrA] offset:272 // L -> Reg lro=0 swapByteOffset=0 ti=128 vIdx=0 rIdx=2 oIdx=0 buffer=7 iui=0
_ds_load_u8_d16_hi v109, v[vgprLocalReadAddrA] offset:408 // L -> Reg lro=0 swapByteOffset=0 ti=128 vIdx=0 rIdx=3 oIdx=0 buffer=7 iui=0


/* local read b */

_ds_load_b32 v[vgprValuB_X7_I0+0], v[vgprLocalReadAddrB] offset:0 // L -> Reg lro=0 swapByteOffset=0 ti=32 vIdx=0 rIdx=0 oIdx=0 buffer=7 iui=0
_ds_load_b32 v[vgprValuB_X7_I0+1], v[vgprLocalReadAddrB] offset:2304 // L -> Reg lro=0 swapByteOffset=0 ti=32 vIdx=1 rIdx=0 oIdx=0 buffer=7 iui=0
	;; [unrolled: 1-line block ×8, first 2 shown]


/* local read inc a */

s_mov_b32 s53, 0x440                               // inc
_v_add_co_u32 v[vgprLocalReadAddrA], vcc, s53, v[vgprLocalReadAddrA] // lrA += 1088 (LSU*(MT+PAD)*bpe)


/* local read inc b */

s_mov_b32 s53, 0x8                                 // inc
_v_add_co_u32 v[vgprLocalReadAddrB], vcc, s53, v[vgprLocalReadAddrB] // lrB += 8 (LSU*bpe)

s_waitcnt lgkmcnt(0)                               // lgkmcnt=0 vmcnt=-14wait for local read

_v_lshl_or_b32 v[vgprValuA_X7_I0+0], v107, 0x8, v[vgprValuA_X7_I0+0] // pack two int8 Vgpr to one half Vgpr
_v_lshl_or_b32 v108, v109, 0x8, v108               // pack two int8 Vgpr to one half Vgpr
v_or_b32 v[vgprValuA_X7_I0+0], v[vgprValuA_X7_I0+0], v108 // pack two half Vgpr to one Vgpr


/* tail loop mfma iter 7: numReadsIterCoalescedA=1, numReadsIterCoalescedB=1 */
v_and_b32 v107, 63, v[vgprSerial]                  // v107 = v[vgprSerial] % 64
v_lshrrev_b32 v107, 5, v107                        // v107 = v107 / 32
v_lshlrev_b32 v107, 0x2, v107                      // v107 = v107 * 4
v_cmp_ge_i32 s[54:55], v107, s[sgprLoopCounterL]   // check K index >= Size L
v_cndmask_b32 v[vgprValuB_X7_I0+0+0+0+0], v[vgprValuB_X7_I0+0+0+0+0], 0x0, s[54:55] // set 0 if K_idx >= sizeL
v_cndmask_b32 v[vgprValuB_X7_I0+1+0+0+0], v[vgprValuB_X7_I0+1+0+0+0], 0x0, s[54:55] // set 0 if K_idx >= sizeL
	;; [unrolled: 1-line block ×8, first 2 shown]
_v_sub_u32 v107, s[sgprLoopCounterL], v107         // get distance between size and k index
v_cmp_lt_i32 s[54:55], v107, 4                     // set partial 0 if distance less than input per thread
s_and_b32 s56, s[sgprLoopCounterL], 3              // get inputs for edge thread
s_sub_u32 s56, 4, s56                              // use shift to fill 0 for outside element
s_lshl_b32 s56, s56, 3                             // use shift to fill 0 for outside element
v_mov_b32 v108, -1                                 // set 0xffffffff
v_lshrrev_b32 v108, s56, v108                      // rshift mask for partial k
v_cndmask_b32 v108, -1, v108, s[54:55]             // select shifted mask for partial k
v_and_b32 v[vgprValuB_X7_I0+0+0+0+0], v[vgprValuB_X7_I0+0+0+0+0], v108 // 
v_and_b32 v[vgprValuB_X7_I0+1+0+0+0], v[vgprValuB_X7_I0+1+0+0+0], v108 // 
	;; [unrolled: 1-line block ×8, first 2 shown]
s_nop 1
v_mfma_i32_32x32x8i8 a[0+0:15+0], v[vgprValuA_X7_I0+0+0+0], v[vgprValuB_X7_I0+0+0+0], a[0:15]
v_mfma_i32_32x32x8i8 a[16+0:31+0], v[vgprValuA_X7_I0+0+0+0], v[vgprValuB_X7_I0+1+0+0], a[16:31]
	;; [unrolled: 1-line block ×8, first 2 shown]


/* closeLoop loopL finalLoop=1 tailLoop=1 */
s_sub_i32 s[sgprLoopCounterL], s[sgprLoopCounterL], 0x8 // dec counterL (tailLoop)
s_add_u32 s[sgprOrigLoopCounter], s[sgprOrigLoopCounter], 0x8 // inc counterL
s_cmp_le_i32 s[sgprLoopCounterL], 0x0              // counterL<=0
s_cbranch_scc0 TailLoopBeginL_6                    // restart LoopL
TailLoopEndL_7:

SkipTailLoopL_8:

Summation_End_28:
/* endSummation: add vgpr [0...104) to pool */

/* Mapping of Acc register -> C Vgpr register */


/* shift vector components d0 */

/* check which macro tile need to shift */
v_mov_b32 v1, s[sgprWorkGroup0]                    // 
v_mul_i32_i24 v1, -0x80, v1                        // wg*MT
_v_add_co_u32 v1, vcc, s[sgprSizesFree+0], v1      // wgMT = Size - wg*MT
v_mov_b32 v2, 0x80                                 // MT
v_min_u32 v1, v2, v1                               // wgMT = (wgMT < MT) ? wgMT : MT

/* check which wave need to shift */
v_lshrrev_b32 v0, 6, v[vgprSerial]                 // v0 = v[vgprSerial] / 64
v_and_b32 v3, 3, v0                                // v3 = v0 % 4
v_lshrrev_b32 v0, 5, v1                            // v0 = v1 / 32
v_and_b32 v4, 3, v0                                // v4 = v0 % 4
v_cmp_eq_u32 s[54:55], v4, v3                      // wave_id == block_belong_to_wave?
v_cndmask_b32 v1, v2, v1, s[54:55]                 // wgMT = (wave_id == block_belong_to_wave) ? wgMT : MT

/* get id of which glvw block need to shift */
v_mul_i32_i24 v5, -0x20, v3                        // wg * MIB
_v_add_co_u32 v5, vcc, v5, v1                      // wgMT = Size - wg*MIB
v_lshrrev_b32 v5, 4, v5                            // glvw block id

/* dispatch to different shift block for shift */
v_and_b32 v6, 15, v1                               // v6 = v1 % 16
v_cmp_eq_u32 vcc, v6, 0x1                          // wgMT%GLVW == 1
s_cbranch_vccnz label_0029                         // branch to shift d0 r=1
v_cmp_eq_u32 vcc, v6, 0x2                          // wgMT%GLVW == 2
s_cbranch_vccnz label_0032                         // branch to shift d0 r=2
v_cmp_eq_u32 vcc, v6, 0x3                          // wgMT%GLVW == 3
s_cbranch_vccnz label_0035                         // branch to shift d0 r=3
v_cmp_eq_u32 vcc, v6, 0x4                          // wgMT%GLVW == 4
s_cbranch_vccnz label_0038                         // branch to shift d0 r=4
v_cmp_eq_u32 vcc, v6, 0x5                          // wgMT%GLVW == 5
s_cbranch_vccnz label_0041                         // branch to shift d0 r=5
v_cmp_eq_u32 vcc, v6, 0x6                          // wgMT%GLVW == 6
s_cbranch_vccnz label_0044                         // branch to shift d0 r=6
v_cmp_eq_u32 vcc, v6, 0x7                          // wgMT%GLVW == 7
s_cbranch_vccnz label_0047                         // branch to shift d0 r=7
v_cmp_eq_u32 vcc, v6, 0x8                          // wgMT%GLVW == 8
s_cbranch_vccnz label_0050                         // branch to shift d0 r=8
v_cmp_eq_u32 vcc, v6, 0x9                          // wgMT%GLVW == 9
s_cbranch_vccnz label_0053                         // branch to shift d0 r=9
v_cmp_eq_u32 vcc, v6, 0xa                          // wgMT%GLVW == 10
s_cbranch_vccnz label_0056                         // branch to shift d0 r=10
v_cmp_eq_u32 vcc, v6, 0xb                          // wgMT%GLVW == 11
s_cbranch_vccnz label_0059                         // branch to shift d0 r=11
v_cmp_eq_u32 vcc, v6, 0xc                          // wgMT%GLVW == 12
s_cbranch_vccnz label_0062                         // branch to shift d0 r=12
v_cmp_eq_u32 vcc, v6, 0xd                          // wgMT%GLVW == 13
s_cbranch_vccnz label_0065                         // branch to shift d0 r=13
v_cmp_eq_u32 vcc, v6, 0xe                          // wgMT%GLVW == 14
s_cbranch_vccnz label_0068                         // branch to shift d0 r=14
v_cmp_eq_u32 vcc, v6, 0xf                          // wgMT%GLVW == 15
s_cbranch_vccnz label_0071                         // branch to shift d0 r=15
s_branch label_0074                                // no shifting

/******************************************/
/* shift d0 shift=1                       */
/******************************************/
label_0029:
v_cmp_eq_u32 vcc, v5, 0x0                          // 
s_cbranch_vccnz label_0030                         // branch to shift d0 shift1 glvwblk0
v_cmp_eq_u32 vcc, v5, 0x1                          // 
s_cbranch_vccnz label_0031                         // branch to shift d0 shift1 glvwblk1

/******************************************/
/* shift d0 shift=2                       */
/******************************************/
label_0032:
v_cmp_eq_u32 vcc, v5, 0x0                          // 
s_cbranch_vccnz label_0033                         // branch to shift d0 shift2 glvwblk0
v_cmp_eq_u32 vcc, v5, 0x1                          // 
s_cbranch_vccnz label_0034                         // branch to shift d0 shift2 glvwblk1

/******************************************/
/* shift d0 shift=3                       */
/******************************************/
label_0035:
v_cmp_eq_u32 vcc, v5, 0x0                          // 
s_cbranch_vccnz label_0036                         // branch to shift d0 shift3 glvwblk0
v_cmp_eq_u32 vcc, v5, 0x1                          // 
s_cbranch_vccnz label_0037                         // branch to shift d0 shift3 glvwblk1

/******************************************/
/* shift d0 shift=4                       */
/******************************************/
label_0038:
v_cmp_eq_u32 vcc, v5, 0x0                          // 
s_cbranch_vccnz label_0039                         // branch to shift d0 shift4 glvwblk0
v_cmp_eq_u32 vcc, v5, 0x1                          // 
s_cbranch_vccnz label_0040                         // branch to shift d0 shift4 glvwblk1

/******************************************/
/* shift d0 shift=5                       */
/******************************************/
label_0041:
v_cmp_eq_u32 vcc, v5, 0x0                          // 
s_cbranch_vccnz label_0042                         // branch to shift d0 shift5 glvwblk0
v_cmp_eq_u32 vcc, v5, 0x1                          // 
s_cbranch_vccnz label_0043                         // branch to shift d0 shift5 glvwblk1

/******************************************/
/* shift d0 shift=6                       */
/******************************************/
label_0044:
v_cmp_eq_u32 vcc, v5, 0x0                          // 
s_cbranch_vccnz label_0045                         // branch to shift d0 shift6 glvwblk0
v_cmp_eq_u32 vcc, v5, 0x1                          // 
s_cbranch_vccnz label_0046                         // branch to shift d0 shift6 glvwblk1

/******************************************/
/* shift d0 shift=7                       */
/******************************************/
label_0047:
v_cmp_eq_u32 vcc, v5, 0x0                          // 
s_cbranch_vccnz label_0048                         // branch to shift d0 shift7 glvwblk0
v_cmp_eq_u32 vcc, v5, 0x1                          // 
s_cbranch_vccnz label_0049                         // branch to shift d0 shift7 glvwblk1

/******************************************/
/* shift d0 shift=8                       */
/******************************************/
label_0050:
v_cmp_eq_u32 vcc, v5, 0x0                          // 
s_cbranch_vccnz label_0051                         // branch to shift d0 shift8 glvwblk0
v_cmp_eq_u32 vcc, v5, 0x1                          // 
s_cbranch_vccnz label_0052                         // branch to shift d0 shift8 glvwblk1

/******************************************/
/* shift d0 shift=9                       */
/******************************************/
label_0053:
v_cmp_eq_u32 vcc, v5, 0x0                          // 
s_cbranch_vccnz label_0054                         // branch to shift d0 shift9 glvwblk0
v_cmp_eq_u32 vcc, v5, 0x1                          // 
s_cbranch_vccnz label_0055                         // branch to shift d0 shift9 glvwblk1

/******************************************/
/* shift d0 shift=10                      */
/******************************************/
label_0056:
v_cmp_eq_u32 vcc, v5, 0x0                          // 
s_cbranch_vccnz label_0057                         // branch to shift d0 shift10 glvwblk0
v_cmp_eq_u32 vcc, v5, 0x1                          // 
s_cbranch_vccnz label_0058                         // branch to shift d0 shift10 glvwblk1

/******************************************/
/* shift d0 shift=11                      */
/******************************************/
label_0059:
v_cmp_eq_u32 vcc, v5, 0x0                          // 
s_cbranch_vccnz label_0060                         // branch to shift d0 shift11 glvwblk0
v_cmp_eq_u32 vcc, v5, 0x1                          // 
s_cbranch_vccnz label_0061                         // branch to shift d0 shift11 glvwblk1

/******************************************/
/* shift d0 shift=12                      */
/******************************************/
label_0062:
v_cmp_eq_u32 vcc, v5, 0x0                          // 
s_cbranch_vccnz label_0063                         // branch to shift d0 shift12 glvwblk0
v_cmp_eq_u32 vcc, v5, 0x1                          // 
s_cbranch_vccnz label_0064                         // branch to shift d0 shift12 glvwblk1

/******************************************/
/* shift d0 shift=13                      */
/******************************************/
label_0065:
v_cmp_eq_u32 vcc, v5, 0x0                          // 
s_cbranch_vccnz label_0066                         // branch to shift d0 shift13 glvwblk0
v_cmp_eq_u32 vcc, v5, 0x1                          // 
s_cbranch_vccnz label_0067                         // branch to shift d0 shift13 glvwblk1

/******************************************/
/* shift d0 shift=14                      */
/******************************************/
label_0068:
v_cmp_eq_u32 vcc, v5, 0x0                          // 
s_cbranch_vccnz label_0069                         // branch to shift d0 shift14 glvwblk0
v_cmp_eq_u32 vcc, v5, 0x1                          // 
s_cbranch_vccnz label_0070                         // branch to shift d0 shift14 glvwblk1

/******************************************/
/* shift d0 shift=15                      */
/******************************************/
label_0071:
v_cmp_eq_u32 vcc, v5, 0x0                          // 
s_cbranch_vccnz label_0072                         // branch to shift d0 shift15 glvwblk0
v_cmp_eq_u32 vcc, v5, 0x1                          // 
s_cbranch_vccnz label_0073                         // branch to shift d0 shift15 glvwblk1

/******************************************/
/* Tony Reg 8-23                          */
/******************************************/

/******************************************/
/* shift d0 shift=1 glvwblk=0             */
/******************************************/
label_0030:
v_and_b32 v6, 63, v[vgprSerial]                    // permute register between threads
v_lshlrev_b32 v6, 0x2, v6                          // permute register between threads
v_lshrrev_b32 v0, 5, v[vgprSerial]                 // v0 = v[vgprSerial] / 32
v_and_b32 v7, 1, v0                                // v7 = v0 % 2
v_accvgpr_read_b32 v8, acc7                        // 
v_accvgpr_read_b32 v12, acc23                      // 
v_accvgpr_read_b32 v16, acc39                      // 
v_accvgpr_read_b32 v20, acc55                      // 
v_accvgpr_read_b32 v24, acc71                      // 
v_accvgpr_read_b32 v28, acc87                      // 
v_accvgpr_read_b32 v32, acc103                     // 
v_accvgpr_read_b32 v36, acc119                     // 
s_nop 1                                            // v_accvgpr read vgpr after write vgpr: 2 wait states
ds_bpermute_b32 v8, v6, v8, offset:128             // permute edge values
ds_bpermute_b32 v12, v6, v12, offset:128           // permute edge values
ds_bpermute_b32 v16, v6, v16, offset:128           // permute edge values
	;; [unrolled: 1-line block ×7, first 2 shown]
s_waitcnt lgkmcnt(0)                               // wait for swizzle operation
s_mov_b32 s54, 0                                   // which thread need to shfit in this block
_v_cmpx_eq_u32 s[54:55], v7, s54                   // is thread in edge glvw region
s_nop 3                                            // wait for exec mask
v_accvgpr_write_b32 acc0, v8                       // 
v_accvgpr_write_b32 acc16, v12                     // 
v_accvgpr_write_b32 acc32, v16                     // 
v_accvgpr_write_b32 acc48, v20                     // 
v_accvgpr_write_b32 acc64, v24                     // 
v_accvgpr_write_b32 acc80, v28                     // 
v_accvgpr_write_b32 acc96, v32                     // 
v_accvgpr_write_b32 acc112, v36                    // 
s_mov_b64 s[54:55], 0xFFFFFFFFFFFFFFFF             // to restore all threads active
s_or_saveexec_b64 vcc, s[54:55]                    // all threads active
s_nop 3                                            // wait for exec mask
s_branch label_0074                                // done

/******************************************/
/* shift d0 shift=1 glvwblk=1             */
/******************************************/
label_0031:
v_and_b32 v6, 63, v[vgprSerial]                    // permute register between threads
v_lshlrev_b32 v6, 0x2, v6                          // permute register between threads
v_lshrrev_b32 v0, 5, v[vgprSerial]                 // v0 = v[vgprSerial] / 32
v_and_b32 v7, 1, v0                                // v7 = v0 % 2
v_accvgpr_read_b32 v8, acc15                       // 
v_accvgpr_read_b32 v12, acc31                      // 
v_accvgpr_read_b32 v16, acc47                      // 
v_accvgpr_read_b32 v20, acc63                      // 
v_accvgpr_read_b32 v24, acc79                      // 
v_accvgpr_read_b32 v28, acc95                      // 
v_accvgpr_read_b32 v32, acc111                     // 
v_accvgpr_read_b32 v36, acc127                     // 
s_nop 1                                            // v_accvgpr read vgpr after write vgpr: 2 wait states
ds_bpermute_b32 v8, v6, v8, offset:128             // permute edge values
ds_bpermute_b32 v12, v6, v12, offset:128           // permute edge values
ds_bpermute_b32 v16, v6, v16, offset:128           // permute edge values
	;; [unrolled: 1-line block ×7, first 2 shown]
s_waitcnt lgkmcnt(0)                               // wait for swizzle operation
s_mov_b32 s54, 0                                   // which thread need to shfit in this block
_v_cmpx_eq_u32 s[54:55], v7, s54                   // is thread in edge glvw region
s_nop 3                                            // wait for exec mask
v_accvgpr_write_b32 acc8, v8                       // 
v_accvgpr_write_b32 acc24, v12                     // 
v_accvgpr_write_b32 acc40, v16                     // 
v_accvgpr_write_b32 acc56, v20                     // 
v_accvgpr_write_b32 acc72, v24                     // 
v_accvgpr_write_b32 acc88, v28                     // 
v_accvgpr_write_b32 acc104, v32                    // 
v_accvgpr_write_b32 acc120, v36                    // 
s_mov_b64 s[54:55], 0xFFFFFFFFFFFFFFFF             // to restore all threads active
s_or_saveexec_b64 vcc, s[54:55]                    // all threads active
s_nop 3                                            // wait for exec mask
s_branch label_0074                                // done

/******************************************/
/* shift d0 shift=2 glvwblk=0             */
/******************************************/
label_0033:
v_and_b32 v6, 63, v[vgprSerial]                    // permute register between threads
v_lshlrev_b32 v6, 0x2, v6                          // permute register between threads
v_lshrrev_b32 v0, 5, v[vgprSerial]                 // v0 = v[vgprSerial] / 32
v_and_b32 v7, 1, v0                                // v7 = v0 % 2
v_accvgpr_read_b32 v8, acc6                        // 
v_accvgpr_read_b32 v12, acc22                      // 
v_accvgpr_read_b32 v16, acc38                      // 
v_accvgpr_read_b32 v20, acc54                      // 
v_accvgpr_read_b32 v24, acc70                      // 
v_accvgpr_read_b32 v28, acc86                      // 
v_accvgpr_read_b32 v32, acc102                     // 
v_accvgpr_read_b32 v36, acc118                     // 
v_accvgpr_read_b32 v9, acc7                        // 
v_accvgpr_read_b32 v13, acc23                      // 
v_accvgpr_read_b32 v17, acc39                      // 
v_accvgpr_read_b32 v21, acc55                      // 
v_accvgpr_read_b32 v25, acc71                      // 
v_accvgpr_read_b32 v29, acc87                      // 
v_accvgpr_read_b32 v33, acc103                     // 
v_accvgpr_read_b32 v37, acc119                     // 
s_nop 1                                            // v_accvgpr read vgpr after write vgpr: 2 wait states
ds_bpermute_b32 v8, v6, v8, offset:128             // permute edge values
ds_bpermute_b32 v12, v6, v12, offset:128           // permute edge values
ds_bpermute_b32 v16, v6, v16, offset:128           // permute edge values
	;; [unrolled: 1-line block ×7, first 2 shown]
ds_bpermute_b32 v9, v6, v9, offset:128             // permute edge values
ds_bpermute_b32 v13, v6, v13, offset:128           // permute edge values
ds_bpermute_b32 v17, v6, v17, offset:128           // permute edge values
	;; [unrolled: 1-line block ×7, first 2 shown]
s_waitcnt lgkmcnt(0)                               // wait for swizzle operation
s_mov_b32 s54, 0                                   // which thread need to shfit in this block
_v_cmpx_eq_u32 s[54:55], v7, s54                   // is thread in edge glvw region
s_nop 3                                            // wait for exec mask
v_accvgpr_write_b32 acc0, v8                       // 
v_accvgpr_write_b32 acc16, v12                     // 
v_accvgpr_write_b32 acc32, v16                     // 
v_accvgpr_write_b32 acc48, v20                     // 
v_accvgpr_write_b32 acc64, v24                     // 
v_accvgpr_write_b32 acc80, v28                     // 
v_accvgpr_write_b32 acc96, v32                     // 
v_accvgpr_write_b32 acc112, v36                    // 
v_accvgpr_write_b32 acc1, v9                       // 
v_accvgpr_write_b32 acc17, v13                     // 
v_accvgpr_write_b32 acc33, v17                     // 
v_accvgpr_write_b32 acc49, v21                     // 
v_accvgpr_write_b32 acc65, v25                     // 
v_accvgpr_write_b32 acc81, v29                     // 
v_accvgpr_write_b32 acc97, v33                     // 
v_accvgpr_write_b32 acc113, v37                    // 
s_mov_b64 s[54:55], 0xFFFFFFFFFFFFFFFF             // to restore all threads active
s_or_saveexec_b64 vcc, s[54:55]                    // all threads active
s_nop 3                                            // wait for exec mask
s_branch label_0074                                // done

/******************************************/
/* shift d0 shift=2 glvwblk=1             */
/******************************************/
label_0034:
v_and_b32 v6, 63, v[vgprSerial]                    // permute register between threads
v_lshlrev_b32 v6, 0x2, v6                          // permute register between threads
v_lshrrev_b32 v0, 5, v[vgprSerial]                 // v0 = v[vgprSerial] / 32
v_and_b32 v7, 1, v0                                // v7 = v0 % 2
v_accvgpr_read_b32 v8, acc14                       // 
v_accvgpr_read_b32 v12, acc30                      // 
v_accvgpr_read_b32 v16, acc46                      // 
v_accvgpr_read_b32 v20, acc62                      // 
v_accvgpr_read_b32 v24, acc78                      // 
v_accvgpr_read_b32 v28, acc94                      // 
v_accvgpr_read_b32 v32, acc110                     // 
v_accvgpr_read_b32 v36, acc126                     // 
v_accvgpr_read_b32 v9, acc15                       // 
v_accvgpr_read_b32 v13, acc31                      // 
v_accvgpr_read_b32 v17, acc47                      // 
v_accvgpr_read_b32 v21, acc63                      // 
v_accvgpr_read_b32 v25, acc79                      // 
v_accvgpr_read_b32 v29, acc95                      // 
v_accvgpr_read_b32 v33, acc111                     // 
v_accvgpr_read_b32 v37, acc127                     // 
s_nop 1                                            // v_accvgpr read vgpr after write vgpr: 2 wait states
ds_bpermute_b32 v8, v6, v8, offset:128             // permute edge values
ds_bpermute_b32 v12, v6, v12, offset:128           // permute edge values
ds_bpermute_b32 v16, v6, v16, offset:128           // permute edge values
	;; [unrolled: 1-line block ×7, first 2 shown]
ds_bpermute_b32 v9, v6, v9, offset:128             // permute edge values
ds_bpermute_b32 v13, v6, v13, offset:128           // permute edge values
ds_bpermute_b32 v17, v6, v17, offset:128           // permute edge values
	;; [unrolled: 1-line block ×7, first 2 shown]
s_waitcnt lgkmcnt(0)                               // wait for swizzle operation
s_mov_b32 s54, 0                                   // which thread need to shfit in this block
_v_cmpx_eq_u32 s[54:55], v7, s54                   // is thread in edge glvw region
s_nop 3                                            // wait for exec mask
v_accvgpr_write_b32 acc8, v8                       // 
v_accvgpr_write_b32 acc24, v12                     // 
v_accvgpr_write_b32 acc40, v16                     // 
v_accvgpr_write_b32 acc56, v20                     // 
v_accvgpr_write_b32 acc72, v24                     // 
v_accvgpr_write_b32 acc88, v28                     // 
v_accvgpr_write_b32 acc104, v32                    // 
v_accvgpr_write_b32 acc120, v36                    // 
v_accvgpr_write_b32 acc9, v9                       // 
v_accvgpr_write_b32 acc25, v13                     // 
v_accvgpr_write_b32 acc41, v17                     // 
v_accvgpr_write_b32 acc57, v21                     // 
v_accvgpr_write_b32 acc73, v25                     // 
v_accvgpr_write_b32 acc89, v29                     // 
v_accvgpr_write_b32 acc105, v33                    // 
v_accvgpr_write_b32 acc121, v37                    // 
s_mov_b64 s[54:55], 0xFFFFFFFFFFFFFFFF             // to restore all threads active
s_or_saveexec_b64 vcc, s[54:55]                    // all threads active
s_nop 3                                            // wait for exec mask
s_branch label_0074                                // done

/******************************************/
/* shift d0 shift=3 glvwblk=0             */
/******************************************/
label_0036:
v_and_b32 v6, 63, v[vgprSerial]                    // permute register between threads
v_lshlrev_b32 v6, 0x2, v6                          // permute register between threads
v_lshrrev_b32 v0, 5, v[vgprSerial]                 // v0 = v[vgprSerial] / 32
v_and_b32 v7, 1, v0                                // v7 = v0 % 2
v_accvgpr_read_b32 v8, acc5                        // 
v_accvgpr_read_b32 v12, acc21                      // 
v_accvgpr_read_b32 v16, acc37                      // 
v_accvgpr_read_b32 v20, acc53                      // 
v_accvgpr_read_b32 v24, acc69                      // 
v_accvgpr_read_b32 v28, acc85                      // 
v_accvgpr_read_b32 v32, acc101                     // 
v_accvgpr_read_b32 v36, acc117                     // 
v_accvgpr_read_b32 v9, acc6                        // 
v_accvgpr_read_b32 v13, acc22                      // 
v_accvgpr_read_b32 v17, acc38                      // 
v_accvgpr_read_b32 v21, acc54                      // 
v_accvgpr_read_b32 v25, acc70                      // 
v_accvgpr_read_b32 v29, acc86                      // 
v_accvgpr_read_b32 v33, acc102                     // 
v_accvgpr_read_b32 v37, acc118                     // 
v_accvgpr_read_b32 v10, acc7                       // 
v_accvgpr_read_b32 v14, acc23                      // 
v_accvgpr_read_b32 v18, acc39                      // 
v_accvgpr_read_b32 v22, acc55                      // 
v_accvgpr_read_b32 v26, acc71                      // 
v_accvgpr_read_b32 v30, acc87                      // 
v_accvgpr_read_b32 v34, acc103                     // 
v_accvgpr_read_b32 v38, acc119                     // 
s_nop 1                                            // v_accvgpr read vgpr after write vgpr: 2 wait states
ds_bpermute_b32 v8, v6, v8, offset:128             // permute edge values
ds_bpermute_b32 v12, v6, v12, offset:128           // permute edge values
ds_bpermute_b32 v16, v6, v16, offset:128           // permute edge values
	;; [unrolled: 1-line block ×7, first 2 shown]
ds_bpermute_b32 v9, v6, v9, offset:128             // permute edge values
ds_bpermute_b32 v13, v6, v13, offset:128           // permute edge values
ds_bpermute_b32 v17, v6, v17, offset:128           // permute edge values
	;; [unrolled: 1-line block ×15, first 2 shown]
s_waitcnt lgkmcnt(0)                               // wait for swizzle operation
s_mov_b32 s54, 0                                   // which thread need to shfit in this block
_v_cmpx_eq_u32 s[54:55], v7, s54                   // is thread in edge glvw region
s_nop 3                                            // wait for exec mask
v_accvgpr_write_b32 acc0, v8                       // 
v_accvgpr_write_b32 acc16, v12                     // 
v_accvgpr_write_b32 acc32, v16                     // 
v_accvgpr_write_b32 acc48, v20                     // 
v_accvgpr_write_b32 acc64, v24                     // 
v_accvgpr_write_b32 acc80, v28                     // 
v_accvgpr_write_b32 acc96, v32                     // 
v_accvgpr_write_b32 acc112, v36                    // 
v_accvgpr_write_b32 acc1, v9                       // 
v_accvgpr_write_b32 acc17, v13                     // 
v_accvgpr_write_b32 acc33, v17                     // 
v_accvgpr_write_b32 acc49, v21                     // 
v_accvgpr_write_b32 acc65, v25                     // 
v_accvgpr_write_b32 acc81, v29                     // 
v_accvgpr_write_b32 acc97, v33                     // 
v_accvgpr_write_b32 acc113, v37                    // 
v_accvgpr_write_b32 acc2, v10                      // 
v_accvgpr_write_b32 acc18, v14                     // 
v_accvgpr_write_b32 acc34, v18                     // 
v_accvgpr_write_b32 acc50, v22                     // 
v_accvgpr_write_b32 acc66, v26                     // 
v_accvgpr_write_b32 acc82, v30                     // 
v_accvgpr_write_b32 acc98, v34                     // 
v_accvgpr_write_b32 acc114, v38                    // 
s_mov_b64 s[54:55], 0xFFFFFFFFFFFFFFFF             // to restore all threads active
s_or_saveexec_b64 vcc, s[54:55]                    // all threads active
s_nop 3                                            // wait for exec mask
s_branch label_0074                                // done

/******************************************/
/* shift d0 shift=3 glvwblk=1             */
/******************************************/
label_0037:
v_and_b32 v6, 63, v[vgprSerial]                    // permute register between threads
v_lshlrev_b32 v6, 0x2, v6                          // permute register between threads
v_lshrrev_b32 v0, 5, v[vgprSerial]                 // v0 = v[vgprSerial] / 32
v_and_b32 v7, 1, v0                                // v7 = v0 % 2
v_accvgpr_read_b32 v8, acc13                       // 
v_accvgpr_read_b32 v12, acc29                      // 
v_accvgpr_read_b32 v16, acc45                      // 
v_accvgpr_read_b32 v20, acc61                      // 
v_accvgpr_read_b32 v24, acc77                      // 
v_accvgpr_read_b32 v28, acc93                      // 
v_accvgpr_read_b32 v32, acc109                     // 
v_accvgpr_read_b32 v36, acc125                     // 
v_accvgpr_read_b32 v9, acc14                       // 
v_accvgpr_read_b32 v13, acc30                      // 
v_accvgpr_read_b32 v17, acc46                      // 
v_accvgpr_read_b32 v21, acc62                      // 
v_accvgpr_read_b32 v25, acc78                      // 
v_accvgpr_read_b32 v29, acc94                      // 
v_accvgpr_read_b32 v33, acc110                     // 
v_accvgpr_read_b32 v37, acc126                     // 
v_accvgpr_read_b32 v10, acc15                      // 
v_accvgpr_read_b32 v14, acc31                      // 
v_accvgpr_read_b32 v18, acc47                      // 
v_accvgpr_read_b32 v22, acc63                      // 
v_accvgpr_read_b32 v26, acc79                      // 
v_accvgpr_read_b32 v30, acc95                      // 
v_accvgpr_read_b32 v34, acc111                     // 
v_accvgpr_read_b32 v38, acc127                     // 
s_nop 1                                            // v_accvgpr read vgpr after write vgpr: 2 wait states
ds_bpermute_b32 v8, v6, v8, offset:128             // permute edge values
ds_bpermute_b32 v12, v6, v12, offset:128           // permute edge values
ds_bpermute_b32 v16, v6, v16, offset:128           // permute edge values
	;; [unrolled: 1-line block ×7, first 2 shown]
ds_bpermute_b32 v9, v6, v9, offset:128             // permute edge values
ds_bpermute_b32 v13, v6, v13, offset:128           // permute edge values
ds_bpermute_b32 v17, v6, v17, offset:128           // permute edge values
	;; [unrolled: 1-line block ×15, first 2 shown]
s_waitcnt lgkmcnt(0)                               // wait for swizzle operation
s_mov_b32 s54, 0                                   // which thread need to shfit in this block
_v_cmpx_eq_u32 s[54:55], v7, s54                   // is thread in edge glvw region
s_nop 3                                            // wait for exec mask
v_accvgpr_write_b32 acc8, v8                       // 
v_accvgpr_write_b32 acc24, v12                     // 
v_accvgpr_write_b32 acc40, v16                     // 
v_accvgpr_write_b32 acc56, v20                     // 
v_accvgpr_write_b32 acc72, v24                     // 
v_accvgpr_write_b32 acc88, v28                     // 
v_accvgpr_write_b32 acc104, v32                    // 
v_accvgpr_write_b32 acc120, v36                    // 
v_accvgpr_write_b32 acc9, v9                       // 
v_accvgpr_write_b32 acc25, v13                     // 
v_accvgpr_write_b32 acc41, v17                     // 
v_accvgpr_write_b32 acc57, v21                     // 
v_accvgpr_write_b32 acc73, v25                     // 
v_accvgpr_write_b32 acc89, v29                     // 
v_accvgpr_write_b32 acc105, v33                    // 
v_accvgpr_write_b32 acc121, v37                    // 
v_accvgpr_write_b32 acc10, v10                     // 
v_accvgpr_write_b32 acc26, v14                     // 
v_accvgpr_write_b32 acc42, v18                     // 
v_accvgpr_write_b32 acc58, v22                     // 
v_accvgpr_write_b32 acc74, v26                     // 
v_accvgpr_write_b32 acc90, v30                     // 
v_accvgpr_write_b32 acc106, v34                    // 
v_accvgpr_write_b32 acc122, v38                    // 
s_mov_b64 s[54:55], 0xFFFFFFFFFFFFFFFF             // to restore all threads active
s_or_saveexec_b64 vcc, s[54:55]                    // all threads active
s_nop 3                                            // wait for exec mask
s_branch label_0074                                // done

/******************************************/
/* shift d0 shift=4 glvwblk=0             */
/******************************************/
label_0039:
v_and_b32 v6, 63, v[vgprSerial]                    // permute register between threads
v_lshlrev_b32 v6, 0x2, v6                          // permute register between threads
v_lshrrev_b32 v0, 5, v[vgprSerial]                 // v0 = v[vgprSerial] / 32
v_and_b32 v7, 1, v0                                // v7 = v0 % 2
v_accvgpr_read_b32 v8, acc4                        // 
v_accvgpr_read_b32 v12, acc20                      // 
v_accvgpr_read_b32 v16, acc36                      // 
v_accvgpr_read_b32 v20, acc52                      // 
v_accvgpr_read_b32 v24, acc68                      // 
v_accvgpr_read_b32 v28, acc84                      // 
v_accvgpr_read_b32 v32, acc100                     // 
v_accvgpr_read_b32 v36, acc116                     // 
v_accvgpr_read_b32 v9, acc5                        // 
v_accvgpr_read_b32 v13, acc21                      // 
v_accvgpr_read_b32 v17, acc37                      // 
v_accvgpr_read_b32 v21, acc53                      // 
v_accvgpr_read_b32 v25, acc69                      // 
v_accvgpr_read_b32 v29, acc85                      // 
v_accvgpr_read_b32 v33, acc101                     // 
v_accvgpr_read_b32 v37, acc117                     // 
v_accvgpr_read_b32 v10, acc6                       // 
v_accvgpr_read_b32 v14, acc22                      // 
v_accvgpr_read_b32 v18, acc38                      // 
v_accvgpr_read_b32 v22, acc54                      // 
v_accvgpr_read_b32 v26, acc70                      // 
v_accvgpr_read_b32 v30, acc86                      // 
v_accvgpr_read_b32 v34, acc102                     // 
v_accvgpr_read_b32 v38, acc118                     // 
v_accvgpr_read_b32 v11, acc7                       // 
v_accvgpr_read_b32 v15, acc23                      // 
v_accvgpr_read_b32 v19, acc39                      // 
v_accvgpr_read_b32 v23, acc55                      // 
v_accvgpr_read_b32 v27, acc71                      // 
v_accvgpr_read_b32 v31, acc87                      // 
v_accvgpr_read_b32 v35, acc103                     // 
v_accvgpr_read_b32 v39, acc119                     // 
s_nop 1                                            // v_accvgpr read vgpr after write vgpr: 2 wait states
ds_bpermute_b32 v8, v6, v8, offset:128             // permute edge values
ds_bpermute_b32 v12, v6, v12, offset:128           // permute edge values
ds_bpermute_b32 v16, v6, v16, offset:128           // permute edge values
	;; [unrolled: 1-line block ×7, first 2 shown]
ds_bpermute_b32 v9, v6, v9, offset:128             // permute edge values
ds_bpermute_b32 v13, v6, v13, offset:128           // permute edge values
ds_bpermute_b32 v17, v6, v17, offset:128           // permute edge values
	;; [unrolled: 1-line block ×23, first 2 shown]
s_waitcnt lgkmcnt(0)                               // wait for swizzle operation
s_mov_b32 s54, 0                                   // which thread need to shfit in this block
_v_cmpx_eq_u32 s[54:55], v7, s54                   // is thread in edge glvw region
s_nop 3                                            // wait for exec mask
v_accvgpr_write_b32 acc0, v8                       // 
v_accvgpr_write_b32 acc16, v12                     // 
v_accvgpr_write_b32 acc32, v16                     // 
v_accvgpr_write_b32 acc48, v20                     // 
v_accvgpr_write_b32 acc64, v24                     // 
v_accvgpr_write_b32 acc80, v28                     // 
v_accvgpr_write_b32 acc96, v32                     // 
v_accvgpr_write_b32 acc112, v36                    // 
v_accvgpr_write_b32 acc1, v9                       // 
v_accvgpr_write_b32 acc17, v13                     // 
v_accvgpr_write_b32 acc33, v17                     // 
v_accvgpr_write_b32 acc49, v21                     // 
v_accvgpr_write_b32 acc65, v25                     // 
v_accvgpr_write_b32 acc81, v29                     // 
v_accvgpr_write_b32 acc97, v33                     // 
v_accvgpr_write_b32 acc113, v37                    // 
v_accvgpr_write_b32 acc2, v10                      // 
v_accvgpr_write_b32 acc18, v14                     // 
v_accvgpr_write_b32 acc34, v18                     // 
v_accvgpr_write_b32 acc50, v22                     // 
v_accvgpr_write_b32 acc66, v26                     // 
v_accvgpr_write_b32 acc82, v30                     // 
v_accvgpr_write_b32 acc98, v34                     // 
v_accvgpr_write_b32 acc114, v38                    // 
v_accvgpr_write_b32 acc3, v11                      // 
v_accvgpr_write_b32 acc19, v15                     // 
v_accvgpr_write_b32 acc35, v19                     // 
v_accvgpr_write_b32 acc51, v23                     // 
v_accvgpr_write_b32 acc67, v27                     // 
v_accvgpr_write_b32 acc83, v31                     // 
v_accvgpr_write_b32 acc99, v35                     // 
v_accvgpr_write_b32 acc115, v39                    // 
s_mov_b64 s[54:55], 0xFFFFFFFFFFFFFFFF             // to restore all threads active
s_or_saveexec_b64 vcc, s[54:55]                    // all threads active
s_nop 3                                            // wait for exec mask
s_branch label_0074                                // done

/******************************************/
/* shift d0 shift=4 glvwblk=1             */
/******************************************/
label_0040:
v_and_b32 v6, 63, v[vgprSerial]                    // permute register between threads
v_lshlrev_b32 v6, 0x2, v6                          // permute register between threads
v_lshrrev_b32 v0, 5, v[vgprSerial]                 // v0 = v[vgprSerial] / 32
v_and_b32 v7, 1, v0                                // v7 = v0 % 2
v_accvgpr_read_b32 v8, acc12                       // 
v_accvgpr_read_b32 v12, acc28                      // 
v_accvgpr_read_b32 v16, acc44                      // 
v_accvgpr_read_b32 v20, acc60                      // 
v_accvgpr_read_b32 v24, acc76                      // 
v_accvgpr_read_b32 v28, acc92                      // 
v_accvgpr_read_b32 v32, acc108                     // 
v_accvgpr_read_b32 v36, acc124                     // 
v_accvgpr_read_b32 v9, acc13                       // 
v_accvgpr_read_b32 v13, acc29                      // 
v_accvgpr_read_b32 v17, acc45                      // 
v_accvgpr_read_b32 v21, acc61                      // 
v_accvgpr_read_b32 v25, acc77                      // 
v_accvgpr_read_b32 v29, acc93                      // 
v_accvgpr_read_b32 v33, acc109                     // 
v_accvgpr_read_b32 v37, acc125                     // 
v_accvgpr_read_b32 v10, acc14                      // 
v_accvgpr_read_b32 v14, acc30                      // 
v_accvgpr_read_b32 v18, acc46                      // 
v_accvgpr_read_b32 v22, acc62                      // 
v_accvgpr_read_b32 v26, acc78                      // 
v_accvgpr_read_b32 v30, acc94                      // 
v_accvgpr_read_b32 v34, acc110                     // 
v_accvgpr_read_b32 v38, acc126                     // 
v_accvgpr_read_b32 v11, acc15                      // 
v_accvgpr_read_b32 v15, acc31                      // 
v_accvgpr_read_b32 v19, acc47                      // 
v_accvgpr_read_b32 v23, acc63                      // 
v_accvgpr_read_b32 v27, acc79                      // 
v_accvgpr_read_b32 v31, acc95                      // 
v_accvgpr_read_b32 v35, acc111                     // 
v_accvgpr_read_b32 v39, acc127                     // 
s_nop 1                                            // v_accvgpr read vgpr after write vgpr: 2 wait states
ds_bpermute_b32 v8, v6, v8, offset:128             // permute edge values
ds_bpermute_b32 v12, v6, v12, offset:128           // permute edge values
ds_bpermute_b32 v16, v6, v16, offset:128           // permute edge values
	;; [unrolled: 1-line block ×7, first 2 shown]
ds_bpermute_b32 v9, v6, v9, offset:128             // permute edge values
ds_bpermute_b32 v13, v6, v13, offset:128           // permute edge values
ds_bpermute_b32 v17, v6, v17, offset:128           // permute edge values
	;; [unrolled: 1-line block ×23, first 2 shown]
s_waitcnt lgkmcnt(0)                               // wait for swizzle operation
s_mov_b32 s54, 0                                   // which thread need to shfit in this block
_v_cmpx_eq_u32 s[54:55], v7, s54                   // is thread in edge glvw region
s_nop 3                                            // wait for exec mask
v_accvgpr_write_b32 acc8, v8                       // 
v_accvgpr_write_b32 acc24, v12                     // 
v_accvgpr_write_b32 acc40, v16                     // 
v_accvgpr_write_b32 acc56, v20                     // 
v_accvgpr_write_b32 acc72, v24                     // 
v_accvgpr_write_b32 acc88, v28                     // 
v_accvgpr_write_b32 acc104, v32                    // 
v_accvgpr_write_b32 acc120, v36                    // 
v_accvgpr_write_b32 acc9, v9                       // 
v_accvgpr_write_b32 acc25, v13                     // 
v_accvgpr_write_b32 acc41, v17                     // 
v_accvgpr_write_b32 acc57, v21                     // 
v_accvgpr_write_b32 acc73, v25                     // 
v_accvgpr_write_b32 acc89, v29                     // 
v_accvgpr_write_b32 acc105, v33                    // 
v_accvgpr_write_b32 acc121, v37                    // 
v_accvgpr_write_b32 acc10, v10                     // 
v_accvgpr_write_b32 acc26, v14                     // 
v_accvgpr_write_b32 acc42, v18                     // 
v_accvgpr_write_b32 acc58, v22                     // 
v_accvgpr_write_b32 acc74, v26                     // 
v_accvgpr_write_b32 acc90, v30                     // 
v_accvgpr_write_b32 acc106, v34                    // 
v_accvgpr_write_b32 acc122, v38                    // 
v_accvgpr_write_b32 acc11, v11                     // 
v_accvgpr_write_b32 acc27, v15                     // 
v_accvgpr_write_b32 acc43, v19                     // 
v_accvgpr_write_b32 acc59, v23                     // 
v_accvgpr_write_b32 acc75, v27                     // 
v_accvgpr_write_b32 acc91, v31                     // 
v_accvgpr_write_b32 acc107, v35                    // 
v_accvgpr_write_b32 acc123, v39                    // 
s_mov_b64 s[54:55], 0xFFFFFFFFFFFFFFFF             // to restore all threads active
s_or_saveexec_b64 vcc, s[54:55]                    // all threads active
s_nop 3                                            // wait for exec mask
s_branch label_0074                                // done

/******************************************/
/* shift d0 shift=5 glvwblk=0             */
/******************************************/
label_0042:
v_and_b32 v6, 63, v[vgprSerial]                    // permute register between threads
v_lshlrev_b32 v6, 0x2, v6                          // permute register between threads
v_lshrrev_b32 v0, 5, v[vgprSerial]                 // v0 = v[vgprSerial] / 32
v_and_b32 v7, 1, v0                                // v7 = v0 % 2
v_accvgpr_read_b32 v8, acc7                        // 
v_accvgpr_read_b32 v12, acc23                      // 
v_accvgpr_read_b32 v16, acc39                      // 
v_accvgpr_read_b32 v20, acc55                      // 
v_accvgpr_read_b32 v24, acc71                      // 
v_accvgpr_read_b32 v28, acc87                      // 
v_accvgpr_read_b32 v32, acc103                     // 
v_accvgpr_read_b32 v36, acc119                     // 
v_accvgpr_read_b32 v9, acc4                        // 
v_accvgpr_read_b32 v13, acc20                      // 
v_accvgpr_read_b32 v17, acc36                      // 
v_accvgpr_read_b32 v21, acc52                      // 
v_accvgpr_read_b32 v25, acc68                      // 
v_accvgpr_read_b32 v29, acc84                      // 
v_accvgpr_read_b32 v33, acc100                     // 
v_accvgpr_read_b32 v37, acc116                     // 
v_accvgpr_read_b32 v10, acc5                       // 
v_accvgpr_read_b32 v14, acc21                      // 
v_accvgpr_read_b32 v18, acc37                      // 
v_accvgpr_read_b32 v22, acc53                      // 
v_accvgpr_read_b32 v26, acc69                      // 
v_accvgpr_read_b32 v30, acc85                      // 
v_accvgpr_read_b32 v34, acc101                     // 
v_accvgpr_read_b32 v38, acc117                     // 
v_accvgpr_read_b32 v11, acc6                       // 
v_accvgpr_read_b32 v15, acc22                      // 
v_accvgpr_read_b32 v19, acc38                      // 
v_accvgpr_read_b32 v23, acc54                      // 
v_accvgpr_read_b32 v27, acc70                      // 
v_accvgpr_read_b32 v31, acc86                      // 
v_accvgpr_read_b32 v35, acc102                     // 
v_accvgpr_read_b32 v39, acc118                     // 
s_nop 1                                            // v_accvgpr read vgpr after write vgpr: 2 wait states
ds_bpermute_b32 v9, v6, v9, offset:128             // permute edge values
ds_bpermute_b32 v13, v6, v13, offset:128           // permute edge values
ds_bpermute_b32 v17, v6, v17, offset:128           // permute edge values
ds_bpermute_b32 v21, v6, v21, offset:128           // permute edge values
ds_bpermute_b32 v25, v6, v25, offset:128           // permute edge values
ds_bpermute_b32 v29, v6, v29, offset:128           // permute edge values
ds_bpermute_b32 v33, v6, v33, offset:128           // permute edge values
ds_bpermute_b32 v37, v6, v37, offset:128           // permute edge values
ds_bpermute_b32 v10, v6, v10, offset:128           // permute edge values
ds_bpermute_b32 v14, v6, v14, offset:128           // permute edge values
ds_bpermute_b32 v18, v6, v18, offset:128           // permute edge values
ds_bpermute_b32 v22, v6, v22, offset:128           // permute edge values
ds_bpermute_b32 v26, v6, v26, offset:128           // permute edge values
ds_bpermute_b32 v30, v6, v30, offset:128           // permute edge values
ds_bpermute_b32 v34, v6, v34, offset:128           // permute edge values
ds_bpermute_b32 v38, v6, v38, offset:128           // permute edge values
ds_bpermute_b32 v11, v6, v11, offset:128           // permute edge values
ds_bpermute_b32 v15, v6, v15, offset:128           // permute edge values
ds_bpermute_b32 v19, v6, v19, offset:128           // permute edge values
ds_bpermute_b32 v23, v6, v23, offset:128           // permute edge values
ds_bpermute_b32 v27, v6, v27, offset:128           // permute edge values
ds_bpermute_b32 v31, v6, v31, offset:128           // permute edge values
ds_bpermute_b32 v35, v6, v35, offset:128           // permute edge values
ds_bpermute_b32 v39, v6, v39, offset:128           // permute edge values
s_waitcnt lgkmcnt(0)                               // wait for swizzle operation
s_mov_b32 s54, 0                                   // which thread need to shfit in this block
_v_cmpx_eq_u32 s[54:55], v7, s54                   // is thread in edge glvw region
s_nop 3                                            // wait for exec mask
v_accvgpr_write_b32 acc0, v8                       // 
v_accvgpr_write_b32 acc16, v12                     // 
v_accvgpr_write_b32 acc32, v16                     // 
v_accvgpr_write_b32 acc48, v20                     // 
v_accvgpr_write_b32 acc64, v24                     // 
v_accvgpr_write_b32 acc80, v28                     // 
v_accvgpr_write_b32 acc96, v32                     // 
v_accvgpr_write_b32 acc112, v36                    // 
v_accvgpr_write_b32 acc1, v9                       // 
v_accvgpr_write_b32 acc17, v13                     // 
v_accvgpr_write_b32 acc33, v17                     // 
v_accvgpr_write_b32 acc49, v21                     // 
v_accvgpr_write_b32 acc65, v25                     // 
v_accvgpr_write_b32 acc81, v29                     // 
v_accvgpr_write_b32 acc97, v33                     // 
v_accvgpr_write_b32 acc113, v37                    // 
v_accvgpr_write_b32 acc2, v10                      // 
v_accvgpr_write_b32 acc18, v14                     // 
v_accvgpr_write_b32 acc34, v18                     // 
v_accvgpr_write_b32 acc50, v22                     // 
v_accvgpr_write_b32 acc66, v26                     // 
v_accvgpr_write_b32 acc82, v30                     // 
v_accvgpr_write_b32 acc98, v34                     // 
v_accvgpr_write_b32 acc114, v38                    // 
v_accvgpr_write_b32 acc3, v11                      // 
v_accvgpr_write_b32 acc19, v15                     // 
v_accvgpr_write_b32 acc35, v19                     // 
v_accvgpr_write_b32 acc51, v23                     // 
v_accvgpr_write_b32 acc67, v27                     // 
v_accvgpr_write_b32 acc83, v31                     // 
v_accvgpr_write_b32 acc99, v35                     // 
v_accvgpr_write_b32 acc115, v39                    // 
s_mov_b64 s[54:55], 0xFFFFFFFFFFFFFFFF             // to restore all threads active
s_or_saveexec_b64 vcc, s[54:55]                    // all threads active
s_nop 3                                            // wait for exec mask
v_accvgpr_read_b32 v8, acc7                        // 
v_accvgpr_read_b32 v12, acc23                      // 
v_accvgpr_read_b32 v16, acc39                      // 
v_accvgpr_read_b32 v20, acc55                      // 
v_accvgpr_read_b32 v24, acc71                      // 
v_accvgpr_read_b32 v28, acc87                      // 
v_accvgpr_read_b32 v32, acc103                     // 
v_accvgpr_read_b32 v36, acc119                     // 
s_nop 1                                            // v_accvgpr read vgpr after write vgpr: 2 wait states
s_mov_b32 s54, 1                                   // which thread need to shfit in this block
_v_cmpx_eq_u32 s[54:55], v7, s54                   // is thread in edge glvw region
s_nop 3                                            // wait for exec mask
v_accvgpr_write_b32 acc0, v8                       // 
v_accvgpr_write_b32 acc16, v12                     // 
v_accvgpr_write_b32 acc32, v16                     // 
v_accvgpr_write_b32 acc48, v20                     // 
v_accvgpr_write_b32 acc64, v24                     // 
v_accvgpr_write_b32 acc80, v28                     // 
v_accvgpr_write_b32 acc96, v32                     // 
v_accvgpr_write_b32 acc112, v36                    // 
s_mov_b64 s[54:55], 0xFFFFFFFFFFFFFFFF             // to restore all threads active
s_or_saveexec_b64 vcc, s[54:55]                    // all threads active
s_nop 3                                            // wait for exec mask
s_branch label_0074                                // done

/******************************************/
/* shift d0 shift=5 glvwblk=1             */
/******************************************/
label_0043:
v_and_b32 v6, 63, v[vgprSerial]                    // permute register between threads
v_lshlrev_b32 v6, 0x2, v6                          // permute register between threads
v_lshrrev_b32 v0, 5, v[vgprSerial]                 // v0 = v[vgprSerial] / 32
v_and_b32 v7, 1, v0                                // v7 = v0 % 2
v_accvgpr_read_b32 v8, acc15                       // 
v_accvgpr_read_b32 v12, acc31                      // 
v_accvgpr_read_b32 v16, acc47                      // 
v_accvgpr_read_b32 v20, acc63                      // 
v_accvgpr_read_b32 v24, acc79                      // 
v_accvgpr_read_b32 v28, acc95                      // 
v_accvgpr_read_b32 v32, acc111                     // 
v_accvgpr_read_b32 v36, acc127                     // 
v_accvgpr_read_b32 v9, acc12                       // 
v_accvgpr_read_b32 v13, acc28                      // 
v_accvgpr_read_b32 v17, acc44                      // 
v_accvgpr_read_b32 v21, acc60                      // 
v_accvgpr_read_b32 v25, acc76                      // 
v_accvgpr_read_b32 v29, acc92                      // 
v_accvgpr_read_b32 v33, acc108                     // 
v_accvgpr_read_b32 v37, acc124                     // 
v_accvgpr_read_b32 v10, acc13                      // 
v_accvgpr_read_b32 v14, acc29                      // 
v_accvgpr_read_b32 v18, acc45                      // 
v_accvgpr_read_b32 v22, acc61                      // 
v_accvgpr_read_b32 v26, acc77                      // 
v_accvgpr_read_b32 v30, acc93                      // 
v_accvgpr_read_b32 v34, acc109                     // 
v_accvgpr_read_b32 v38, acc125                     // 
v_accvgpr_read_b32 v11, acc14                      // 
v_accvgpr_read_b32 v15, acc30                      // 
v_accvgpr_read_b32 v19, acc46                      // 
v_accvgpr_read_b32 v23, acc62                      // 
v_accvgpr_read_b32 v27, acc78                      // 
v_accvgpr_read_b32 v31, acc94                      // 
v_accvgpr_read_b32 v35, acc110                     // 
v_accvgpr_read_b32 v39, acc126                     // 
s_nop 1                                            // v_accvgpr read vgpr after write vgpr: 2 wait states
ds_bpermute_b32 v9, v6, v9, offset:128             // permute edge values
ds_bpermute_b32 v13, v6, v13, offset:128           // permute edge values
ds_bpermute_b32 v17, v6, v17, offset:128           // permute edge values
	;; [unrolled: 1-line block ×23, first 2 shown]
s_waitcnt lgkmcnt(0)                               // wait for swizzle operation
s_mov_b32 s54, 0                                   // which thread need to shfit in this block
_v_cmpx_eq_u32 s[54:55], v7, s54                   // is thread in edge glvw region
s_nop 3                                            // wait for exec mask
v_accvgpr_write_b32 acc8, v8                       // 
v_accvgpr_write_b32 acc24, v12                     // 
v_accvgpr_write_b32 acc40, v16                     // 
v_accvgpr_write_b32 acc56, v20                     // 
v_accvgpr_write_b32 acc72, v24                     // 
v_accvgpr_write_b32 acc88, v28                     // 
v_accvgpr_write_b32 acc104, v32                    // 
v_accvgpr_write_b32 acc120, v36                    // 
v_accvgpr_write_b32 acc9, v9                       // 
v_accvgpr_write_b32 acc25, v13                     // 
v_accvgpr_write_b32 acc41, v17                     // 
v_accvgpr_write_b32 acc57, v21                     // 
v_accvgpr_write_b32 acc73, v25                     // 
v_accvgpr_write_b32 acc89, v29                     // 
v_accvgpr_write_b32 acc105, v33                    // 
v_accvgpr_write_b32 acc121, v37                    // 
v_accvgpr_write_b32 acc10, v10                     // 
v_accvgpr_write_b32 acc26, v14                     // 
v_accvgpr_write_b32 acc42, v18                     // 
v_accvgpr_write_b32 acc58, v22                     // 
v_accvgpr_write_b32 acc74, v26                     // 
v_accvgpr_write_b32 acc90, v30                     // 
v_accvgpr_write_b32 acc106, v34                    // 
v_accvgpr_write_b32 acc122, v38                    // 
v_accvgpr_write_b32 acc11, v11                     // 
v_accvgpr_write_b32 acc27, v15                     // 
v_accvgpr_write_b32 acc43, v19                     // 
v_accvgpr_write_b32 acc59, v23                     // 
v_accvgpr_write_b32 acc75, v27                     // 
v_accvgpr_write_b32 acc91, v31                     // 
v_accvgpr_write_b32 acc107, v35                    // 
v_accvgpr_write_b32 acc123, v39                    // 
s_mov_b64 s[54:55], 0xFFFFFFFFFFFFFFFF             // to restore all threads active
s_or_saveexec_b64 vcc, s[54:55]                    // all threads active
s_nop 3                                            // wait for exec mask
v_accvgpr_read_b32 v8, acc15                       // 
v_accvgpr_read_b32 v12, acc31                      // 
v_accvgpr_read_b32 v16, acc47                      // 
v_accvgpr_read_b32 v20, acc63                      // 
v_accvgpr_read_b32 v24, acc79                      // 
v_accvgpr_read_b32 v28, acc95                      // 
v_accvgpr_read_b32 v32, acc111                     // 
v_accvgpr_read_b32 v36, acc127                     // 
s_nop 1                                            // v_accvgpr read vgpr after write vgpr: 2 wait states
s_mov_b32 s54, 1                                   // which thread need to shfit in this block
_v_cmpx_eq_u32 s[54:55], v7, s54                   // is thread in edge glvw region
s_nop 3                                            // wait for exec mask
v_accvgpr_write_b32 acc8, v8                       // 
v_accvgpr_write_b32 acc24, v12                     // 
v_accvgpr_write_b32 acc40, v16                     // 
v_accvgpr_write_b32 acc56, v20                     // 
v_accvgpr_write_b32 acc72, v24                     // 
v_accvgpr_write_b32 acc88, v28                     // 
v_accvgpr_write_b32 acc104, v32                    // 
v_accvgpr_write_b32 acc120, v36                    // 
s_mov_b64 s[54:55], 0xFFFFFFFFFFFFFFFF             // to restore all threads active
s_or_saveexec_b64 vcc, s[54:55]                    // all threads active
s_nop 3                                            // wait for exec mask
s_branch label_0074                                // done

/******************************************/
/* shift d0 shift=6 glvwblk=0             */
/******************************************/
label_0045:
v_and_b32 v6, 63, v[vgprSerial]                    // permute register between threads
v_lshlrev_b32 v6, 0x2, v6                          // permute register between threads
v_lshrrev_b32 v0, 5, v[vgprSerial]                 // v0 = v[vgprSerial] / 32
v_and_b32 v7, 1, v0                                // v7 = v0 % 2
v_accvgpr_read_b32 v8, acc6                        // 
v_accvgpr_read_b32 v12, acc22                      // 
v_accvgpr_read_b32 v16, acc38                      // 
v_accvgpr_read_b32 v20, acc54                      // 
v_accvgpr_read_b32 v24, acc70                      // 
v_accvgpr_read_b32 v28, acc86                      // 
v_accvgpr_read_b32 v32, acc102                     // 
v_accvgpr_read_b32 v36, acc118                     // 
v_accvgpr_read_b32 v9, acc7                        // 
v_accvgpr_read_b32 v13, acc23                      // 
v_accvgpr_read_b32 v17, acc39                      // 
v_accvgpr_read_b32 v21, acc55                      // 
v_accvgpr_read_b32 v25, acc71                      // 
v_accvgpr_read_b32 v29, acc87                      // 
v_accvgpr_read_b32 v33, acc103                     // 
v_accvgpr_read_b32 v37, acc119                     // 
v_accvgpr_read_b32 v10, acc4                       // 
v_accvgpr_read_b32 v14, acc20                      // 
v_accvgpr_read_b32 v18, acc36                      // 
v_accvgpr_read_b32 v22, acc52                      // 
v_accvgpr_read_b32 v26, acc68                      // 
v_accvgpr_read_b32 v30, acc84                      // 
v_accvgpr_read_b32 v34, acc100                     // 
v_accvgpr_read_b32 v38, acc116                     // 
v_accvgpr_read_b32 v11, acc5                       // 
v_accvgpr_read_b32 v15, acc21                      // 
v_accvgpr_read_b32 v19, acc37                      // 
v_accvgpr_read_b32 v23, acc53                      // 
v_accvgpr_read_b32 v27, acc69                      // 
v_accvgpr_read_b32 v31, acc85                      // 
v_accvgpr_read_b32 v35, acc101                     // 
v_accvgpr_read_b32 v39, acc117                     // 
s_nop 1                                            // v_accvgpr read vgpr after write vgpr: 2 wait states
ds_bpermute_b32 v10, v6, v10, offset:128           // permute edge values
ds_bpermute_b32 v14, v6, v14, offset:128           // permute edge values
	;; [unrolled: 1-line block ×16, first 2 shown]
s_waitcnt lgkmcnt(0)                               // wait for swizzle operation
s_mov_b32 s54, 0                                   // which thread need to shfit in this block
_v_cmpx_eq_u32 s[54:55], v7, s54                   // is thread in edge glvw region
s_nop 3                                            // wait for exec mask
v_accvgpr_write_b32 acc0, v8                       // 
v_accvgpr_write_b32 acc16, v12                     // 
v_accvgpr_write_b32 acc32, v16                     // 
v_accvgpr_write_b32 acc48, v20                     // 
v_accvgpr_write_b32 acc64, v24                     // 
v_accvgpr_write_b32 acc80, v28                     // 
v_accvgpr_write_b32 acc96, v32                     // 
v_accvgpr_write_b32 acc112, v36                    // 
v_accvgpr_write_b32 acc1, v9                       // 
v_accvgpr_write_b32 acc17, v13                     // 
v_accvgpr_write_b32 acc33, v17                     // 
v_accvgpr_write_b32 acc49, v21                     // 
v_accvgpr_write_b32 acc65, v25                     // 
v_accvgpr_write_b32 acc81, v29                     // 
v_accvgpr_write_b32 acc97, v33                     // 
v_accvgpr_write_b32 acc113, v37                    // 
v_accvgpr_write_b32 acc2, v10                      // 
v_accvgpr_write_b32 acc18, v14                     // 
v_accvgpr_write_b32 acc34, v18                     // 
v_accvgpr_write_b32 acc50, v22                     // 
v_accvgpr_write_b32 acc66, v26                     // 
v_accvgpr_write_b32 acc82, v30                     // 
v_accvgpr_write_b32 acc98, v34                     // 
v_accvgpr_write_b32 acc114, v38                    // 
v_accvgpr_write_b32 acc3, v11                      // 
v_accvgpr_write_b32 acc19, v15                     // 
v_accvgpr_write_b32 acc35, v19                     // 
v_accvgpr_write_b32 acc51, v23                     // 
v_accvgpr_write_b32 acc67, v27                     // 
v_accvgpr_write_b32 acc83, v31                     // 
v_accvgpr_write_b32 acc99, v35                     // 
v_accvgpr_write_b32 acc115, v39                    // 
s_mov_b64 s[54:55], 0xFFFFFFFFFFFFFFFF             // to restore all threads active
s_or_saveexec_b64 vcc, s[54:55]                    // all threads active
s_nop 3                                            // wait for exec mask
v_accvgpr_read_b32 v8, acc6                        // 
v_accvgpr_read_b32 v12, acc22                      // 
v_accvgpr_read_b32 v16, acc38                      // 
v_accvgpr_read_b32 v20, acc54                      // 
v_accvgpr_read_b32 v24, acc70                      // 
v_accvgpr_read_b32 v28, acc86                      // 
v_accvgpr_read_b32 v32, acc102                     // 
v_accvgpr_read_b32 v36, acc118                     // 
v_accvgpr_read_b32 v9, acc7                        // 
v_accvgpr_read_b32 v13, acc23                      // 
v_accvgpr_read_b32 v17, acc39                      // 
v_accvgpr_read_b32 v21, acc55                      // 
v_accvgpr_read_b32 v25, acc71                      // 
v_accvgpr_read_b32 v29, acc87                      // 
v_accvgpr_read_b32 v33, acc103                     // 
v_accvgpr_read_b32 v37, acc119                     // 
s_nop 1                                            // v_accvgpr read vgpr after write vgpr: 2 wait states
s_mov_b32 s54, 1                                   // which thread need to shfit in this block
_v_cmpx_eq_u32 s[54:55], v7, s54                   // is thread in edge glvw region
s_nop 3                                            // wait for exec mask
v_accvgpr_write_b32 acc0, v8                       // 
v_accvgpr_write_b32 acc16, v12                     // 
v_accvgpr_write_b32 acc32, v16                     // 
v_accvgpr_write_b32 acc48, v20                     // 
v_accvgpr_write_b32 acc64, v24                     // 
v_accvgpr_write_b32 acc80, v28                     // 
v_accvgpr_write_b32 acc96, v32                     // 
v_accvgpr_write_b32 acc112, v36                    // 
v_accvgpr_write_b32 acc1, v9                       // 
v_accvgpr_write_b32 acc17, v13                     // 
v_accvgpr_write_b32 acc33, v17                     // 
v_accvgpr_write_b32 acc49, v21                     // 
v_accvgpr_write_b32 acc65, v25                     // 
v_accvgpr_write_b32 acc81, v29                     // 
v_accvgpr_write_b32 acc97, v33                     // 
v_accvgpr_write_b32 acc113, v37                    // 
s_mov_b64 s[54:55], 0xFFFFFFFFFFFFFFFF             // to restore all threads active
s_or_saveexec_b64 vcc, s[54:55]                    // all threads active
s_nop 3                                            // wait for exec mask
s_branch label_0074                                // done

/******************************************/
/* shift d0 shift=6 glvwblk=1             */
/******************************************/
label_0046:
v_and_b32 v6, 63, v[vgprSerial]                    // permute register between threads
v_lshlrev_b32 v6, 0x2, v6                          // permute register between threads
v_lshrrev_b32 v0, 5, v[vgprSerial]                 // v0 = v[vgprSerial] / 32
v_and_b32 v7, 1, v0                                // v7 = v0 % 2
v_accvgpr_read_b32 v8, acc14                       // 
v_accvgpr_read_b32 v12, acc30                      // 
v_accvgpr_read_b32 v16, acc46                      // 
v_accvgpr_read_b32 v20, acc62                      // 
v_accvgpr_read_b32 v24, acc78                      // 
v_accvgpr_read_b32 v28, acc94                      // 
v_accvgpr_read_b32 v32, acc110                     // 
v_accvgpr_read_b32 v36, acc126                     // 
v_accvgpr_read_b32 v9, acc15                       // 
v_accvgpr_read_b32 v13, acc31                      // 
v_accvgpr_read_b32 v17, acc47                      // 
v_accvgpr_read_b32 v21, acc63                      // 
v_accvgpr_read_b32 v25, acc79                      // 
v_accvgpr_read_b32 v29, acc95                      // 
v_accvgpr_read_b32 v33, acc111                     // 
v_accvgpr_read_b32 v37, acc127                     // 
v_accvgpr_read_b32 v10, acc12                      // 
v_accvgpr_read_b32 v14, acc28                      // 
v_accvgpr_read_b32 v18, acc44                      // 
v_accvgpr_read_b32 v22, acc60                      // 
v_accvgpr_read_b32 v26, acc76                      // 
v_accvgpr_read_b32 v30, acc92                      // 
v_accvgpr_read_b32 v34, acc108                     // 
v_accvgpr_read_b32 v38, acc124                     // 
v_accvgpr_read_b32 v11, acc13                      // 
v_accvgpr_read_b32 v15, acc29                      // 
v_accvgpr_read_b32 v19, acc45                      // 
v_accvgpr_read_b32 v23, acc61                      // 
v_accvgpr_read_b32 v27, acc77                      // 
v_accvgpr_read_b32 v31, acc93                      // 
v_accvgpr_read_b32 v35, acc109                     // 
v_accvgpr_read_b32 v39, acc125                     // 
s_nop 1                                            // v_accvgpr read vgpr after write vgpr: 2 wait states
ds_bpermute_b32 v10, v6, v10, offset:128           // permute edge values
ds_bpermute_b32 v14, v6, v14, offset:128           // permute edge values
	;; [unrolled: 1-line block ×16, first 2 shown]
s_waitcnt lgkmcnt(0)                               // wait for swizzle operation
s_mov_b32 s54, 0                                   // which thread need to shfit in this block
_v_cmpx_eq_u32 s[54:55], v7, s54                   // is thread in edge glvw region
s_nop 3                                            // wait for exec mask
v_accvgpr_write_b32 acc8, v8                       // 
v_accvgpr_write_b32 acc24, v12                     // 
v_accvgpr_write_b32 acc40, v16                     // 
v_accvgpr_write_b32 acc56, v20                     // 
v_accvgpr_write_b32 acc72, v24                     // 
v_accvgpr_write_b32 acc88, v28                     // 
v_accvgpr_write_b32 acc104, v32                    // 
v_accvgpr_write_b32 acc120, v36                    // 
v_accvgpr_write_b32 acc9, v9                       // 
v_accvgpr_write_b32 acc25, v13                     // 
v_accvgpr_write_b32 acc41, v17                     // 
v_accvgpr_write_b32 acc57, v21                     // 
v_accvgpr_write_b32 acc73, v25                     // 
v_accvgpr_write_b32 acc89, v29                     // 
v_accvgpr_write_b32 acc105, v33                    // 
v_accvgpr_write_b32 acc121, v37                    // 
v_accvgpr_write_b32 acc10, v10                     // 
v_accvgpr_write_b32 acc26, v14                     // 
v_accvgpr_write_b32 acc42, v18                     // 
v_accvgpr_write_b32 acc58, v22                     // 
v_accvgpr_write_b32 acc74, v26                     // 
v_accvgpr_write_b32 acc90, v30                     // 
v_accvgpr_write_b32 acc106, v34                    // 
v_accvgpr_write_b32 acc122, v38                    // 
v_accvgpr_write_b32 acc11, v11                     // 
v_accvgpr_write_b32 acc27, v15                     // 
v_accvgpr_write_b32 acc43, v19                     // 
v_accvgpr_write_b32 acc59, v23                     // 
v_accvgpr_write_b32 acc75, v27                     // 
v_accvgpr_write_b32 acc91, v31                     // 
v_accvgpr_write_b32 acc107, v35                    // 
v_accvgpr_write_b32 acc123, v39                    // 
s_mov_b64 s[54:55], 0xFFFFFFFFFFFFFFFF             // to restore all threads active
s_or_saveexec_b64 vcc, s[54:55]                    // all threads active
s_nop 3                                            // wait for exec mask
v_accvgpr_read_b32 v8, acc14                       // 
v_accvgpr_read_b32 v12, acc30                      // 
v_accvgpr_read_b32 v16, acc46                      // 
v_accvgpr_read_b32 v20, acc62                      // 
v_accvgpr_read_b32 v24, acc78                      // 
v_accvgpr_read_b32 v28, acc94                      // 
v_accvgpr_read_b32 v32, acc110                     // 
v_accvgpr_read_b32 v36, acc126                     // 
v_accvgpr_read_b32 v9, acc15                       // 
v_accvgpr_read_b32 v13, acc31                      // 
v_accvgpr_read_b32 v17, acc47                      // 
v_accvgpr_read_b32 v21, acc63                      // 
v_accvgpr_read_b32 v25, acc79                      // 
v_accvgpr_read_b32 v29, acc95                      // 
v_accvgpr_read_b32 v33, acc111                     // 
v_accvgpr_read_b32 v37, acc127                     // 
s_nop 1                                            // v_accvgpr read vgpr after write vgpr: 2 wait states
s_mov_b32 s54, 1                                   // which thread need to shfit in this block
_v_cmpx_eq_u32 s[54:55], v7, s54                   // is thread in edge glvw region
s_nop 3                                            // wait for exec mask
v_accvgpr_write_b32 acc8, v8                       // 
v_accvgpr_write_b32 acc24, v12                     // 
v_accvgpr_write_b32 acc40, v16                     // 
v_accvgpr_write_b32 acc56, v20                     // 
v_accvgpr_write_b32 acc72, v24                     // 
v_accvgpr_write_b32 acc88, v28                     // 
v_accvgpr_write_b32 acc104, v32                    // 
v_accvgpr_write_b32 acc120, v36                    // 
v_accvgpr_write_b32 acc9, v9                       // 
v_accvgpr_write_b32 acc25, v13                     // 
v_accvgpr_write_b32 acc41, v17                     // 
v_accvgpr_write_b32 acc57, v21                     // 
v_accvgpr_write_b32 acc73, v25                     // 
v_accvgpr_write_b32 acc89, v29                     // 
v_accvgpr_write_b32 acc105, v33                    // 
v_accvgpr_write_b32 acc121, v37                    // 
s_mov_b64 s[54:55], 0xFFFFFFFFFFFFFFFF             // to restore all threads active
s_or_saveexec_b64 vcc, s[54:55]                    // all threads active
s_nop 3                                            // wait for exec mask
s_branch label_0074                                // done

/******************************************/
/* shift d0 shift=7 glvwblk=0             */
/******************************************/
label_0048:
v_and_b32 v6, 63, v[vgprSerial]                    // permute register between threads
v_lshlrev_b32 v6, 0x2, v6                          // permute register between threads
v_lshrrev_b32 v0, 5, v[vgprSerial]                 // v0 = v[vgprSerial] / 32
v_and_b32 v7, 1, v0                                // v7 = v0 % 2
v_accvgpr_read_b32 v8, acc5                        // 
v_accvgpr_read_b32 v12, acc21                      // 
v_accvgpr_read_b32 v16, acc37                      // 
v_accvgpr_read_b32 v20, acc53                      // 
v_accvgpr_read_b32 v24, acc69                      // 
v_accvgpr_read_b32 v28, acc85                      // 
v_accvgpr_read_b32 v32, acc101                     // 
v_accvgpr_read_b32 v36, acc117                     // 
v_accvgpr_read_b32 v9, acc6                        // 
v_accvgpr_read_b32 v13, acc22                      // 
v_accvgpr_read_b32 v17, acc38                      // 
v_accvgpr_read_b32 v21, acc54                      // 
v_accvgpr_read_b32 v25, acc70                      // 
v_accvgpr_read_b32 v29, acc86                      // 
v_accvgpr_read_b32 v33, acc102                     // 
v_accvgpr_read_b32 v37, acc118                     // 
v_accvgpr_read_b32 v10, acc7                       // 
v_accvgpr_read_b32 v14, acc23                      // 
v_accvgpr_read_b32 v18, acc39                      // 
v_accvgpr_read_b32 v22, acc55                      // 
v_accvgpr_read_b32 v26, acc71                      // 
v_accvgpr_read_b32 v30, acc87                      // 
v_accvgpr_read_b32 v34, acc103                     // 
v_accvgpr_read_b32 v38, acc119                     // 
v_accvgpr_read_b32 v11, acc4                       // 
v_accvgpr_read_b32 v15, acc20                      // 
v_accvgpr_read_b32 v19, acc36                      // 
v_accvgpr_read_b32 v23, acc52                      // 
v_accvgpr_read_b32 v27, acc68                      // 
v_accvgpr_read_b32 v31, acc84                      // 
v_accvgpr_read_b32 v35, acc100                     // 
v_accvgpr_read_b32 v39, acc116                     // 
s_nop 1                                            // v_accvgpr read vgpr after write vgpr: 2 wait states
ds_bpermute_b32 v11, v6, v11, offset:128           // permute edge values
ds_bpermute_b32 v15, v6, v15, offset:128           // permute edge values
	;; [unrolled: 1-line block ×8, first 2 shown]
s_waitcnt lgkmcnt(0)                               // wait for swizzle operation
s_mov_b32 s54, 0                                   // which thread need to shfit in this block
_v_cmpx_eq_u32 s[54:55], v7, s54                   // is thread in edge glvw region
s_nop 3                                            // wait for exec mask
v_accvgpr_write_b32 acc0, v8                       // 
v_accvgpr_write_b32 acc16, v12                     // 
v_accvgpr_write_b32 acc32, v16                     // 
v_accvgpr_write_b32 acc48, v20                     // 
v_accvgpr_write_b32 acc64, v24                     // 
v_accvgpr_write_b32 acc80, v28                     // 
v_accvgpr_write_b32 acc96, v32                     // 
v_accvgpr_write_b32 acc112, v36                    // 
v_accvgpr_write_b32 acc1, v9                       // 
v_accvgpr_write_b32 acc17, v13                     // 
v_accvgpr_write_b32 acc33, v17                     // 
v_accvgpr_write_b32 acc49, v21                     // 
v_accvgpr_write_b32 acc65, v25                     // 
v_accvgpr_write_b32 acc81, v29                     // 
v_accvgpr_write_b32 acc97, v33                     // 
v_accvgpr_write_b32 acc113, v37                    // 
v_accvgpr_write_b32 acc2, v10                      // 
v_accvgpr_write_b32 acc18, v14                     // 
v_accvgpr_write_b32 acc34, v18                     // 
v_accvgpr_write_b32 acc50, v22                     // 
v_accvgpr_write_b32 acc66, v26                     // 
v_accvgpr_write_b32 acc82, v30                     // 
v_accvgpr_write_b32 acc98, v34                     // 
v_accvgpr_write_b32 acc114, v38                    // 
v_accvgpr_write_b32 acc3, v11                      // 
v_accvgpr_write_b32 acc19, v15                     // 
v_accvgpr_write_b32 acc35, v19                     // 
v_accvgpr_write_b32 acc51, v23                     // 
v_accvgpr_write_b32 acc67, v27                     // 
v_accvgpr_write_b32 acc83, v31                     // 
v_accvgpr_write_b32 acc99, v35                     // 
v_accvgpr_write_b32 acc115, v39                    // 
s_mov_b64 s[54:55], 0xFFFFFFFFFFFFFFFF             // to restore all threads active
s_or_saveexec_b64 vcc, s[54:55]                    // all threads active
s_nop 3                                            // wait for exec mask
v_accvgpr_read_b32 v8, acc5                        // 
v_accvgpr_read_b32 v12, acc21                      // 
v_accvgpr_read_b32 v16, acc37                      // 
v_accvgpr_read_b32 v20, acc53                      // 
v_accvgpr_read_b32 v24, acc69                      // 
v_accvgpr_read_b32 v28, acc85                      // 
v_accvgpr_read_b32 v32, acc101                     // 
v_accvgpr_read_b32 v36, acc117                     // 
v_accvgpr_read_b32 v9, acc6                        // 
v_accvgpr_read_b32 v13, acc22                      // 
v_accvgpr_read_b32 v17, acc38                      // 
v_accvgpr_read_b32 v21, acc54                      // 
v_accvgpr_read_b32 v25, acc70                      // 
v_accvgpr_read_b32 v29, acc86                      // 
v_accvgpr_read_b32 v33, acc102                     // 
v_accvgpr_read_b32 v37, acc118                     // 
v_accvgpr_read_b32 v10, acc7                       // 
v_accvgpr_read_b32 v14, acc23                      // 
v_accvgpr_read_b32 v18, acc39                      // 
v_accvgpr_read_b32 v22, acc55                      // 
v_accvgpr_read_b32 v26, acc71                      // 
v_accvgpr_read_b32 v30, acc87                      // 
v_accvgpr_read_b32 v34, acc103                     // 
v_accvgpr_read_b32 v38, acc119                     // 
s_nop 1                                            // v_accvgpr read vgpr after write vgpr: 2 wait states
s_mov_b32 s54, 1                                   // which thread need to shfit in this block
_v_cmpx_eq_u32 s[54:55], v7, s54                   // is thread in edge glvw region
s_nop 3                                            // wait for exec mask
v_accvgpr_write_b32 acc0, v8                       // 
v_accvgpr_write_b32 acc16, v12                     // 
v_accvgpr_write_b32 acc32, v16                     // 
v_accvgpr_write_b32 acc48, v20                     // 
v_accvgpr_write_b32 acc64, v24                     // 
v_accvgpr_write_b32 acc80, v28                     // 
v_accvgpr_write_b32 acc96, v32                     // 
v_accvgpr_write_b32 acc112, v36                    // 
v_accvgpr_write_b32 acc1, v9                       // 
v_accvgpr_write_b32 acc17, v13                     // 
v_accvgpr_write_b32 acc33, v17                     // 
v_accvgpr_write_b32 acc49, v21                     // 
v_accvgpr_write_b32 acc65, v25                     // 
v_accvgpr_write_b32 acc81, v29                     // 
v_accvgpr_write_b32 acc97, v33                     // 
v_accvgpr_write_b32 acc113, v37                    // 
v_accvgpr_write_b32 acc2, v10                      // 
v_accvgpr_write_b32 acc18, v14                     // 
v_accvgpr_write_b32 acc34, v18                     // 
v_accvgpr_write_b32 acc50, v22                     // 
v_accvgpr_write_b32 acc66, v26                     // 
v_accvgpr_write_b32 acc82, v30                     // 
v_accvgpr_write_b32 acc98, v34                     // 
v_accvgpr_write_b32 acc114, v38                    // 
s_mov_b64 s[54:55], 0xFFFFFFFFFFFFFFFF             // to restore all threads active
s_or_saveexec_b64 vcc, s[54:55]                    // all threads active
s_nop 3                                            // wait for exec mask
s_branch label_0074                                // done

/******************************************/
/* shift d0 shift=7 glvwblk=1             */
/******************************************/
label_0049:
v_and_b32 v6, 63, v[vgprSerial]                    // permute register between threads
v_lshlrev_b32 v6, 0x2, v6                          // permute register between threads
v_lshrrev_b32 v0, 5, v[vgprSerial]                 // v0 = v[vgprSerial] / 32
v_and_b32 v7, 1, v0                                // v7 = v0 % 2
v_accvgpr_read_b32 v8, acc13                       // 
v_accvgpr_read_b32 v12, acc29                      // 
v_accvgpr_read_b32 v16, acc45                      // 
v_accvgpr_read_b32 v20, acc61                      // 
v_accvgpr_read_b32 v24, acc77                      // 
v_accvgpr_read_b32 v28, acc93                      // 
v_accvgpr_read_b32 v32, acc109                     // 
v_accvgpr_read_b32 v36, acc125                     // 
v_accvgpr_read_b32 v9, acc14                       // 
v_accvgpr_read_b32 v13, acc30                      // 
v_accvgpr_read_b32 v17, acc46                      // 
v_accvgpr_read_b32 v21, acc62                      // 
v_accvgpr_read_b32 v25, acc78                      // 
v_accvgpr_read_b32 v29, acc94                      // 
v_accvgpr_read_b32 v33, acc110                     // 
v_accvgpr_read_b32 v37, acc126                     // 
v_accvgpr_read_b32 v10, acc15                      // 
v_accvgpr_read_b32 v14, acc31                      // 
v_accvgpr_read_b32 v18, acc47                      // 
v_accvgpr_read_b32 v22, acc63                      // 
v_accvgpr_read_b32 v26, acc79                      // 
v_accvgpr_read_b32 v30, acc95                      // 
v_accvgpr_read_b32 v34, acc111                     // 
v_accvgpr_read_b32 v38, acc127                     // 
v_accvgpr_read_b32 v11, acc12                      // 
v_accvgpr_read_b32 v15, acc28                      // 
v_accvgpr_read_b32 v19, acc44                      // 
v_accvgpr_read_b32 v23, acc60                      // 
v_accvgpr_read_b32 v27, acc76                      // 
v_accvgpr_read_b32 v31, acc92                      // 
v_accvgpr_read_b32 v35, acc108                     // 
v_accvgpr_read_b32 v39, acc124                     // 
s_nop 1                                            // v_accvgpr read vgpr after write vgpr: 2 wait states
ds_bpermute_b32 v11, v6, v11, offset:128           // permute edge values
ds_bpermute_b32 v15, v6, v15, offset:128           // permute edge values
ds_bpermute_b32 v19, v6, v19, offset:128           // permute edge values
ds_bpermute_b32 v23, v6, v23, offset:128           // permute edge values
ds_bpermute_b32 v27, v6, v27, offset:128           // permute edge values
ds_bpermute_b32 v31, v6, v31, offset:128           // permute edge values
ds_bpermute_b32 v35, v6, v35, offset:128           // permute edge values
ds_bpermute_b32 v39, v6, v39, offset:128           // permute edge values
s_waitcnt lgkmcnt(0)                               // wait for swizzle operation
s_mov_b32 s54, 0                                   // which thread need to shfit in this block
_v_cmpx_eq_u32 s[54:55], v7, s54                   // is thread in edge glvw region
s_nop 3                                            // wait for exec mask
v_accvgpr_write_b32 acc8, v8                       // 
v_accvgpr_write_b32 acc24, v12                     // 
v_accvgpr_write_b32 acc40, v16                     // 
v_accvgpr_write_b32 acc56, v20                     // 
v_accvgpr_write_b32 acc72, v24                     // 
v_accvgpr_write_b32 acc88, v28                     // 
v_accvgpr_write_b32 acc104, v32                    // 
v_accvgpr_write_b32 acc120, v36                    // 
v_accvgpr_write_b32 acc9, v9                       // 
v_accvgpr_write_b32 acc25, v13                     // 
v_accvgpr_write_b32 acc41, v17                     // 
v_accvgpr_write_b32 acc57, v21                     // 
v_accvgpr_write_b32 acc73, v25                     // 
v_accvgpr_write_b32 acc89, v29                     // 
v_accvgpr_write_b32 acc105, v33                    // 
v_accvgpr_write_b32 acc121, v37                    // 
v_accvgpr_write_b32 acc10, v10                     // 
v_accvgpr_write_b32 acc26, v14                     // 
v_accvgpr_write_b32 acc42, v18                     // 
v_accvgpr_write_b32 acc58, v22                     // 
v_accvgpr_write_b32 acc74, v26                     // 
v_accvgpr_write_b32 acc90, v30                     // 
v_accvgpr_write_b32 acc106, v34                    // 
v_accvgpr_write_b32 acc122, v38                    // 
v_accvgpr_write_b32 acc11, v11                     // 
v_accvgpr_write_b32 acc27, v15                     // 
v_accvgpr_write_b32 acc43, v19                     // 
v_accvgpr_write_b32 acc59, v23                     // 
v_accvgpr_write_b32 acc75, v27                     // 
v_accvgpr_write_b32 acc91, v31                     // 
v_accvgpr_write_b32 acc107, v35                    // 
v_accvgpr_write_b32 acc123, v39                    // 
s_mov_b64 s[54:55], 0xFFFFFFFFFFFFFFFF             // to restore all threads active
s_or_saveexec_b64 vcc, s[54:55]                    // all threads active
s_nop 3                                            // wait for exec mask
v_accvgpr_read_b32 v8, acc13                       // 
v_accvgpr_read_b32 v12, acc29                      // 
v_accvgpr_read_b32 v16, acc45                      // 
v_accvgpr_read_b32 v20, acc61                      // 
v_accvgpr_read_b32 v24, acc77                      // 
v_accvgpr_read_b32 v28, acc93                      // 
v_accvgpr_read_b32 v32, acc109                     // 
v_accvgpr_read_b32 v36, acc125                     // 
v_accvgpr_read_b32 v9, acc14                       // 
v_accvgpr_read_b32 v13, acc30                      // 
v_accvgpr_read_b32 v17, acc46                      // 
v_accvgpr_read_b32 v21, acc62                      // 
v_accvgpr_read_b32 v25, acc78                      // 
v_accvgpr_read_b32 v29, acc94                      // 
v_accvgpr_read_b32 v33, acc110                     // 
v_accvgpr_read_b32 v37, acc126                     // 
v_accvgpr_read_b32 v10, acc15                      // 
v_accvgpr_read_b32 v14, acc31                      // 
v_accvgpr_read_b32 v18, acc47                      // 
v_accvgpr_read_b32 v22, acc63                      // 
v_accvgpr_read_b32 v26, acc79                      // 
v_accvgpr_read_b32 v30, acc95                      // 
v_accvgpr_read_b32 v34, acc111                     // 
v_accvgpr_read_b32 v38, acc127                     // 
s_nop 1                                            // v_accvgpr read vgpr after write vgpr: 2 wait states
s_mov_b32 s54, 1                                   // which thread need to shfit in this block
_v_cmpx_eq_u32 s[54:55], v7, s54                   // is thread in edge glvw region
s_nop 3                                            // wait for exec mask
v_accvgpr_write_b32 acc8, v8                       // 
v_accvgpr_write_b32 acc24, v12                     // 
v_accvgpr_write_b32 acc40, v16                     // 
v_accvgpr_write_b32 acc56, v20                     // 
v_accvgpr_write_b32 acc72, v24                     // 
v_accvgpr_write_b32 acc88, v28                     // 
v_accvgpr_write_b32 acc104, v32                    // 
v_accvgpr_write_b32 acc120, v36                    // 
v_accvgpr_write_b32 acc9, v9                       // 
v_accvgpr_write_b32 acc25, v13                     // 
v_accvgpr_write_b32 acc41, v17                     // 
v_accvgpr_write_b32 acc57, v21                     // 
v_accvgpr_write_b32 acc73, v25                     // 
v_accvgpr_write_b32 acc89, v29                     // 
v_accvgpr_write_b32 acc105, v33                    // 
v_accvgpr_write_b32 acc121, v37                    // 
v_accvgpr_write_b32 acc10, v10                     // 
v_accvgpr_write_b32 acc26, v14                     // 
v_accvgpr_write_b32 acc42, v18                     // 
v_accvgpr_write_b32 acc58, v22                     // 
v_accvgpr_write_b32 acc74, v26                     // 
v_accvgpr_write_b32 acc90, v30                     // 
v_accvgpr_write_b32 acc106, v34                    // 
v_accvgpr_write_b32 acc122, v38                    // 
s_mov_b64 s[54:55], 0xFFFFFFFFFFFFFFFF             // to restore all threads active
s_or_saveexec_b64 vcc, s[54:55]                    // all threads active
s_nop 3                                            // wait for exec mask
s_branch label_0074                                // done

/******************************************/
/* shift d0 shift=8 glvwblk=0             */
/******************************************/
label_0051:
v_and_b32 v6, 63, v[vgprSerial]                    // permute register between threads
v_lshlrev_b32 v6, 0x2, v6                          // permute register between threads
v_lshrrev_b32 v0, 5, v[vgprSerial]                 // v0 = v[vgprSerial] / 32
v_and_b32 v7, 1, v0                                // v7 = v0 % 2
v_accvgpr_read_b32 v8, acc4                        // 
v_accvgpr_read_b32 v12, acc20                      // 
v_accvgpr_read_b32 v16, acc36                      // 
v_accvgpr_read_b32 v20, acc52                      // 
v_accvgpr_read_b32 v24, acc68                      // 
v_accvgpr_read_b32 v28, acc84                      // 
v_accvgpr_read_b32 v32, acc100                     // 
v_accvgpr_read_b32 v36, acc116                     // 
v_accvgpr_read_b32 v9, acc5                        // 
v_accvgpr_read_b32 v13, acc21                      // 
v_accvgpr_read_b32 v17, acc37                      // 
v_accvgpr_read_b32 v21, acc53                      // 
v_accvgpr_read_b32 v25, acc69                      // 
v_accvgpr_read_b32 v29, acc85                      // 
v_accvgpr_read_b32 v33, acc101                     // 
v_accvgpr_read_b32 v37, acc117                     // 
v_accvgpr_read_b32 v10, acc6                       // 
v_accvgpr_read_b32 v14, acc22                      // 
v_accvgpr_read_b32 v18, acc38                      // 
v_accvgpr_read_b32 v22, acc54                      // 
v_accvgpr_read_b32 v26, acc70                      // 
v_accvgpr_read_b32 v30, acc86                      // 
v_accvgpr_read_b32 v34, acc102                     // 
v_accvgpr_read_b32 v38, acc118                     // 
v_accvgpr_read_b32 v11, acc7                       // 
v_accvgpr_read_b32 v15, acc23                      // 
v_accvgpr_read_b32 v19, acc39                      // 
v_accvgpr_read_b32 v23, acc55                      // 
v_accvgpr_read_b32 v27, acc71                      // 
v_accvgpr_read_b32 v31, acc87                      // 
v_accvgpr_read_b32 v35, acc103                     // 
v_accvgpr_read_b32 v39, acc119                     // 
s_nop 1                                            // v_accvgpr read vgpr after write vgpr: 2 wait states
s_mov_b32 s54, 0                                   // which thread need to shfit in this block
_v_cmpx_eq_u32 s[54:55], v7, s54                   // is thread in edge glvw region
s_nop 3                                            // wait for exec mask
v_accvgpr_write_b32 acc0, v8                       // 
v_accvgpr_write_b32 acc16, v12                     // 
v_accvgpr_write_b32 acc32, v16                     // 
v_accvgpr_write_b32 acc48, v20                     // 
v_accvgpr_write_b32 acc64, v24                     // 
v_accvgpr_write_b32 acc80, v28                     // 
v_accvgpr_write_b32 acc96, v32                     // 
v_accvgpr_write_b32 acc112, v36                    // 
v_accvgpr_write_b32 acc1, v9                       // 
v_accvgpr_write_b32 acc17, v13                     // 
v_accvgpr_write_b32 acc33, v17                     // 
v_accvgpr_write_b32 acc49, v21                     // 
v_accvgpr_write_b32 acc65, v25                     // 
v_accvgpr_write_b32 acc81, v29                     // 
v_accvgpr_write_b32 acc97, v33                     // 
v_accvgpr_write_b32 acc113, v37                    // 
v_accvgpr_write_b32 acc2, v10                      // 
v_accvgpr_write_b32 acc18, v14                     // 
v_accvgpr_write_b32 acc34, v18                     // 
v_accvgpr_write_b32 acc50, v22                     // 
v_accvgpr_write_b32 acc66, v26                     // 
v_accvgpr_write_b32 acc82, v30                     // 
v_accvgpr_write_b32 acc98, v34                     // 
v_accvgpr_write_b32 acc114, v38                    // 
v_accvgpr_write_b32 acc3, v11                      // 
v_accvgpr_write_b32 acc19, v15                     // 
v_accvgpr_write_b32 acc35, v19                     // 
v_accvgpr_write_b32 acc51, v23                     // 
v_accvgpr_write_b32 acc67, v27                     // 
v_accvgpr_write_b32 acc83, v31                     // 
v_accvgpr_write_b32 acc99, v35                     // 
v_accvgpr_write_b32 acc115, v39                    // 
s_mov_b64 s[54:55], 0xFFFFFFFFFFFFFFFF             // to restore all threads active
s_or_saveexec_b64 vcc, s[54:55]                    // all threads active
s_nop 3                                            // wait for exec mask
v_accvgpr_read_b32 v8, acc4                        // 
v_accvgpr_read_b32 v12, acc20                      // 
v_accvgpr_read_b32 v16, acc36                      // 
v_accvgpr_read_b32 v20, acc52                      // 
v_accvgpr_read_b32 v24, acc68                      // 
v_accvgpr_read_b32 v28, acc84                      // 
v_accvgpr_read_b32 v32, acc100                     // 
v_accvgpr_read_b32 v36, acc116                     // 
v_accvgpr_read_b32 v9, acc5                        // 
v_accvgpr_read_b32 v13, acc21                      // 
v_accvgpr_read_b32 v17, acc37                      // 
v_accvgpr_read_b32 v21, acc53                      // 
v_accvgpr_read_b32 v25, acc69                      // 
v_accvgpr_read_b32 v29, acc85                      // 
v_accvgpr_read_b32 v33, acc101                     // 
v_accvgpr_read_b32 v37, acc117                     // 
v_accvgpr_read_b32 v10, acc6                       // 
v_accvgpr_read_b32 v14, acc22                      // 
v_accvgpr_read_b32 v18, acc38                      // 
v_accvgpr_read_b32 v22, acc54                      // 
v_accvgpr_read_b32 v26, acc70                      // 
v_accvgpr_read_b32 v30, acc86                      // 
v_accvgpr_read_b32 v34, acc102                     // 
v_accvgpr_read_b32 v38, acc118                     // 
v_accvgpr_read_b32 v11, acc7                       // 
v_accvgpr_read_b32 v15, acc23                      // 
v_accvgpr_read_b32 v19, acc39                      // 
v_accvgpr_read_b32 v23, acc55                      // 
v_accvgpr_read_b32 v27, acc71                      // 
v_accvgpr_read_b32 v31, acc87                      // 
v_accvgpr_read_b32 v35, acc103                     // 
v_accvgpr_read_b32 v39, acc119                     // 
s_nop 1                                            // v_accvgpr read vgpr after write vgpr: 2 wait states
s_mov_b32 s54, 1                                   // which thread need to shfit in this block
_v_cmpx_eq_u32 s[54:55], v7, s54                   // is thread in edge glvw region
s_nop 3                                            // wait for exec mask
v_accvgpr_write_b32 acc0, v8                       // 
v_accvgpr_write_b32 acc16, v12                     // 
v_accvgpr_write_b32 acc32, v16                     // 
v_accvgpr_write_b32 acc48, v20                     // 
v_accvgpr_write_b32 acc64, v24                     // 
v_accvgpr_write_b32 acc80, v28                     // 
v_accvgpr_write_b32 acc96, v32                     // 
v_accvgpr_write_b32 acc112, v36                    // 
v_accvgpr_write_b32 acc1, v9                       // 
v_accvgpr_write_b32 acc17, v13                     // 
v_accvgpr_write_b32 acc33, v17                     // 
v_accvgpr_write_b32 acc49, v21                     // 
v_accvgpr_write_b32 acc65, v25                     // 
v_accvgpr_write_b32 acc81, v29                     // 
v_accvgpr_write_b32 acc97, v33                     // 
v_accvgpr_write_b32 acc113, v37                    // 
v_accvgpr_write_b32 acc2, v10                      // 
v_accvgpr_write_b32 acc18, v14                     // 
v_accvgpr_write_b32 acc34, v18                     // 
v_accvgpr_write_b32 acc50, v22                     // 
v_accvgpr_write_b32 acc66, v26                     // 
v_accvgpr_write_b32 acc82, v30                     // 
v_accvgpr_write_b32 acc98, v34                     // 
v_accvgpr_write_b32 acc114, v38                    // 
v_accvgpr_write_b32 acc3, v11                      // 
v_accvgpr_write_b32 acc19, v15                     // 
v_accvgpr_write_b32 acc35, v19                     // 
v_accvgpr_write_b32 acc51, v23                     // 
v_accvgpr_write_b32 acc67, v27                     // 
v_accvgpr_write_b32 acc83, v31                     // 
v_accvgpr_write_b32 acc99, v35                     // 
v_accvgpr_write_b32 acc115, v39                    // 
s_mov_b64 s[54:55], 0xFFFFFFFFFFFFFFFF             // to restore all threads active
s_or_saveexec_b64 vcc, s[54:55]                    // all threads active
s_nop 3                                            // wait for exec mask
s_branch label_0074                                // done

/******************************************/
/* shift d0 shift=8 glvwblk=1             */
/******************************************/
label_0052:
v_and_b32 v6, 63, v[vgprSerial]                    // permute register between threads
v_lshlrev_b32 v6, 0x2, v6                          // permute register between threads
v_lshrrev_b32 v0, 5, v[vgprSerial]                 // v0 = v[vgprSerial] / 32
v_and_b32 v7, 1, v0                                // v7 = v0 % 2
v_accvgpr_read_b32 v8, acc12                       // 
v_accvgpr_read_b32 v12, acc28                      // 
v_accvgpr_read_b32 v16, acc44                      // 
v_accvgpr_read_b32 v20, acc60                      // 
v_accvgpr_read_b32 v24, acc76                      // 
v_accvgpr_read_b32 v28, acc92                      // 
v_accvgpr_read_b32 v32, acc108                     // 
v_accvgpr_read_b32 v36, acc124                     // 
v_accvgpr_read_b32 v9, acc13                       // 
v_accvgpr_read_b32 v13, acc29                      // 
v_accvgpr_read_b32 v17, acc45                      // 
v_accvgpr_read_b32 v21, acc61                      // 
v_accvgpr_read_b32 v25, acc77                      // 
v_accvgpr_read_b32 v29, acc93                      // 
v_accvgpr_read_b32 v33, acc109                     // 
v_accvgpr_read_b32 v37, acc125                     // 
v_accvgpr_read_b32 v10, acc14                      // 
v_accvgpr_read_b32 v14, acc30                      // 
v_accvgpr_read_b32 v18, acc46                      // 
v_accvgpr_read_b32 v22, acc62                      // 
v_accvgpr_read_b32 v26, acc78                      // 
v_accvgpr_read_b32 v30, acc94                      // 
v_accvgpr_read_b32 v34, acc110                     // 
v_accvgpr_read_b32 v38, acc126                     // 
v_accvgpr_read_b32 v11, acc15                      // 
v_accvgpr_read_b32 v15, acc31                      // 
v_accvgpr_read_b32 v19, acc47                      // 
v_accvgpr_read_b32 v23, acc63                      // 
v_accvgpr_read_b32 v27, acc79                      // 
v_accvgpr_read_b32 v31, acc95                      // 
v_accvgpr_read_b32 v35, acc111                     // 
v_accvgpr_read_b32 v39, acc127                     // 
s_nop 1                                            // v_accvgpr read vgpr after write vgpr: 2 wait states
s_mov_b32 s54, 0                                   // which thread need to shfit in this block
_v_cmpx_eq_u32 s[54:55], v7, s54                   // is thread in edge glvw region
s_nop 3                                            // wait for exec mask
v_accvgpr_write_b32 acc8, v8                       // 
v_accvgpr_write_b32 acc24, v12                     // 
v_accvgpr_write_b32 acc40, v16                     // 
v_accvgpr_write_b32 acc56, v20                     // 
v_accvgpr_write_b32 acc72, v24                     // 
v_accvgpr_write_b32 acc88, v28                     // 
v_accvgpr_write_b32 acc104, v32                    // 
v_accvgpr_write_b32 acc120, v36                    // 
v_accvgpr_write_b32 acc9, v9                       // 
v_accvgpr_write_b32 acc25, v13                     // 
v_accvgpr_write_b32 acc41, v17                     // 
v_accvgpr_write_b32 acc57, v21                     // 
v_accvgpr_write_b32 acc73, v25                     // 
v_accvgpr_write_b32 acc89, v29                     // 
v_accvgpr_write_b32 acc105, v33                    // 
v_accvgpr_write_b32 acc121, v37                    // 
v_accvgpr_write_b32 acc10, v10                     // 
v_accvgpr_write_b32 acc26, v14                     // 
v_accvgpr_write_b32 acc42, v18                     // 
v_accvgpr_write_b32 acc58, v22                     // 
v_accvgpr_write_b32 acc74, v26                     // 
v_accvgpr_write_b32 acc90, v30                     // 
v_accvgpr_write_b32 acc106, v34                    // 
v_accvgpr_write_b32 acc122, v38                    // 
v_accvgpr_write_b32 acc11, v11                     // 
v_accvgpr_write_b32 acc27, v15                     // 
v_accvgpr_write_b32 acc43, v19                     // 
v_accvgpr_write_b32 acc59, v23                     // 
v_accvgpr_write_b32 acc75, v27                     // 
v_accvgpr_write_b32 acc91, v31                     // 
v_accvgpr_write_b32 acc107, v35                    // 
v_accvgpr_write_b32 acc123, v39                    // 
s_mov_b64 s[54:55], 0xFFFFFFFFFFFFFFFF             // to restore all threads active
s_or_saveexec_b64 vcc, s[54:55]                    // all threads active
s_nop 3                                            // wait for exec mask
v_accvgpr_read_b32 v8, acc12                       // 
v_accvgpr_read_b32 v12, acc28                      // 
v_accvgpr_read_b32 v16, acc44                      // 
v_accvgpr_read_b32 v20, acc60                      // 
v_accvgpr_read_b32 v24, acc76                      // 
v_accvgpr_read_b32 v28, acc92                      // 
v_accvgpr_read_b32 v32, acc108                     // 
v_accvgpr_read_b32 v36, acc124                     // 
v_accvgpr_read_b32 v9, acc13                       // 
v_accvgpr_read_b32 v13, acc29                      // 
v_accvgpr_read_b32 v17, acc45                      // 
v_accvgpr_read_b32 v21, acc61                      // 
v_accvgpr_read_b32 v25, acc77                      // 
v_accvgpr_read_b32 v29, acc93                      // 
v_accvgpr_read_b32 v33, acc109                     // 
v_accvgpr_read_b32 v37, acc125                     // 
v_accvgpr_read_b32 v10, acc14                      // 
v_accvgpr_read_b32 v14, acc30                      // 
v_accvgpr_read_b32 v18, acc46                      // 
v_accvgpr_read_b32 v22, acc62                      // 
v_accvgpr_read_b32 v26, acc78                      // 
v_accvgpr_read_b32 v30, acc94                      // 
v_accvgpr_read_b32 v34, acc110                     // 
v_accvgpr_read_b32 v38, acc126                     // 
v_accvgpr_read_b32 v11, acc15                      // 
v_accvgpr_read_b32 v15, acc31                      // 
v_accvgpr_read_b32 v19, acc47                      // 
v_accvgpr_read_b32 v23, acc63                      // 
v_accvgpr_read_b32 v27, acc79                      // 
v_accvgpr_read_b32 v31, acc95                      // 
v_accvgpr_read_b32 v35, acc111                     // 
v_accvgpr_read_b32 v39, acc127                     // 
s_nop 1                                            // v_accvgpr read vgpr after write vgpr: 2 wait states
s_mov_b32 s54, 1                                   // which thread need to shfit in this block
_v_cmpx_eq_u32 s[54:55], v7, s54                   // is thread in edge glvw region
s_nop 3                                            // wait for exec mask
v_accvgpr_write_b32 acc8, v8                       // 
v_accvgpr_write_b32 acc24, v12                     // 
v_accvgpr_write_b32 acc40, v16                     // 
v_accvgpr_write_b32 acc56, v20                     // 
v_accvgpr_write_b32 acc72, v24                     // 
v_accvgpr_write_b32 acc88, v28                     // 
v_accvgpr_write_b32 acc104, v32                    // 
v_accvgpr_write_b32 acc120, v36                    // 
v_accvgpr_write_b32 acc9, v9                       // 
v_accvgpr_write_b32 acc25, v13                     // 
v_accvgpr_write_b32 acc41, v17                     // 
v_accvgpr_write_b32 acc57, v21                     // 
v_accvgpr_write_b32 acc73, v25                     // 
v_accvgpr_write_b32 acc89, v29                     // 
v_accvgpr_write_b32 acc105, v33                    // 
v_accvgpr_write_b32 acc121, v37                    // 
v_accvgpr_write_b32 acc10, v10                     // 
v_accvgpr_write_b32 acc26, v14                     // 
v_accvgpr_write_b32 acc42, v18                     // 
v_accvgpr_write_b32 acc58, v22                     // 
v_accvgpr_write_b32 acc74, v26                     // 
v_accvgpr_write_b32 acc90, v30                     // 
v_accvgpr_write_b32 acc106, v34                    // 
v_accvgpr_write_b32 acc122, v38                    // 
v_accvgpr_write_b32 acc11, v11                     // 
v_accvgpr_write_b32 acc27, v15                     // 
v_accvgpr_write_b32 acc43, v19                     // 
v_accvgpr_write_b32 acc59, v23                     // 
v_accvgpr_write_b32 acc75, v27                     // 
v_accvgpr_write_b32 acc91, v31                     // 
v_accvgpr_write_b32 acc107, v35                    // 
v_accvgpr_write_b32 acc123, v39                    // 
s_mov_b64 s[54:55], 0xFFFFFFFFFFFFFFFF             // to restore all threads active
s_or_saveexec_b64 vcc, s[54:55]                    // all threads active
s_nop 3                                            // wait for exec mask
s_branch label_0074                                // done

/******************************************/
/* shift d0 shift=9 glvwblk=0             */
/******************************************/
label_0054:
v_and_b32 v6, 63, v[vgprSerial]                    // permute register between threads
v_lshlrev_b32 v6, 0x2, v6                          // permute register between threads
v_lshrrev_b32 v0, 5, v[vgprSerial]                 // v0 = v[vgprSerial] / 32
v_and_b32 v7, 1, v0                                // v7 = v0 % 2
v_accvgpr_read_b32 v8, acc3                        // 
v_accvgpr_read_b32 v12, acc19                      // 
v_accvgpr_read_b32 v16, acc35                      // 
v_accvgpr_read_b32 v20, acc51                      // 
v_accvgpr_read_b32 v24, acc67                      // 
v_accvgpr_read_b32 v28, acc83                      // 
v_accvgpr_read_b32 v32, acc99                      // 
v_accvgpr_read_b32 v36, acc115                     // 
v_accvgpr_read_b32 v9, acc4                        // 
v_accvgpr_read_b32 v13, acc20                      // 
v_accvgpr_read_b32 v17, acc36                      // 
v_accvgpr_read_b32 v21, acc52                      // 
v_accvgpr_read_b32 v25, acc68                      // 
v_accvgpr_read_b32 v29, acc84                      // 
v_accvgpr_read_b32 v33, acc100                     // 
v_accvgpr_read_b32 v37, acc116                     // 
v_accvgpr_read_b32 v10, acc5                       // 
v_accvgpr_read_b32 v14, acc21                      // 
v_accvgpr_read_b32 v18, acc37                      // 
v_accvgpr_read_b32 v22, acc53                      // 
v_accvgpr_read_b32 v26, acc69                      // 
v_accvgpr_read_b32 v30, acc85                      // 
v_accvgpr_read_b32 v34, acc101                     // 
v_accvgpr_read_b32 v38, acc117                     // 
v_accvgpr_read_b32 v11, acc6                       // 
v_accvgpr_read_b32 v15, acc22                      // 
v_accvgpr_read_b32 v19, acc38                      // 
v_accvgpr_read_b32 v23, acc54                      // 
v_accvgpr_read_b32 v27, acc70                      // 
v_accvgpr_read_b32 v31, acc86                      // 
v_accvgpr_read_b32 v35, acc102                     // 
v_accvgpr_read_b32 v39, acc118                     // 
s_nop 1                                            // v_accvgpr read vgpr after write vgpr: 2 wait states
ds_bpermute_b32 v8, v6, v8, offset:128             // permute edge values
ds_bpermute_b32 v12, v6, v12, offset:128           // permute edge values
ds_bpermute_b32 v16, v6, v16, offset:128           // permute edge values
ds_bpermute_b32 v20, v6, v20, offset:128           // permute edge values
ds_bpermute_b32 v24, v6, v24, offset:128           // permute edge values
ds_bpermute_b32 v28, v6, v28, offset:128           // permute edge values
ds_bpermute_b32 v32, v6, v32, offset:128           // permute edge values
ds_bpermute_b32 v36, v6, v36, offset:128           // permute edge values
s_waitcnt lgkmcnt(0)                               // wait for swizzle operation
s_mov_b32 s54, 0                                   // which thread need to shfit in this block
_v_cmpx_eq_u32 s[54:55], v7, s54                   // is thread in edge glvw region
s_nop 3                                            // wait for exec mask
v_accvgpr_write_b32 acc0, v8                       // 
v_accvgpr_write_b32 acc16, v12                     // 
v_accvgpr_write_b32 acc32, v16                     // 
v_accvgpr_write_b32 acc48, v20                     // 
v_accvgpr_write_b32 acc64, v24                     // 
v_accvgpr_write_b32 acc80, v28                     // 
v_accvgpr_write_b32 acc96, v32                     // 
v_accvgpr_write_b32 acc112, v36                    // 
v_accvgpr_write_b32 acc1, v9                       // 
v_accvgpr_write_b32 acc17, v13                     // 
v_accvgpr_write_b32 acc33, v17                     // 
v_accvgpr_write_b32 acc49, v21                     // 
v_accvgpr_write_b32 acc65, v25                     // 
v_accvgpr_write_b32 acc81, v29                     // 
v_accvgpr_write_b32 acc97, v33                     // 
v_accvgpr_write_b32 acc113, v37                    // 
v_accvgpr_write_b32 acc2, v10                      // 
v_accvgpr_write_b32 acc18, v14                     // 
v_accvgpr_write_b32 acc34, v18                     // 
v_accvgpr_write_b32 acc50, v22                     // 
v_accvgpr_write_b32 acc66, v26                     // 
v_accvgpr_write_b32 acc82, v30                     // 
v_accvgpr_write_b32 acc98, v34                     // 
v_accvgpr_write_b32 acc114, v38                    // 
v_accvgpr_write_b32 acc3, v11                      // 
v_accvgpr_write_b32 acc19, v15                     // 
v_accvgpr_write_b32 acc35, v19                     // 
v_accvgpr_write_b32 acc51, v23                     // 
v_accvgpr_write_b32 acc67, v27                     // 
v_accvgpr_write_b32 acc83, v31                     // 
v_accvgpr_write_b32 acc99, v35                     // 
v_accvgpr_write_b32 acc115, v39                    // 
s_mov_b64 s[54:55], 0xFFFFFFFFFFFFFFFF             // to restore all threads active
s_or_saveexec_b64 vcc, s[54:55]                    // all threads active
s_nop 3                                            // wait for exec mask
v_accvgpr_read_b32 v8, acc7                        // 
v_accvgpr_read_b32 v12, acc23                      // 
v_accvgpr_read_b32 v16, acc39                      // 
v_accvgpr_read_b32 v20, acc55                      // 
v_accvgpr_read_b32 v24, acc71                      // 
v_accvgpr_read_b32 v28, acc87                      // 
v_accvgpr_read_b32 v32, acc103                     // 
v_accvgpr_read_b32 v36, acc119                     // 
v_accvgpr_read_b32 v9, acc4                        // 
v_accvgpr_read_b32 v13, acc20                      // 
v_accvgpr_read_b32 v17, acc36                      // 
v_accvgpr_read_b32 v21, acc52                      // 
v_accvgpr_read_b32 v25, acc68                      // 
v_accvgpr_read_b32 v29, acc84                      // 
v_accvgpr_read_b32 v33, acc100                     // 
v_accvgpr_read_b32 v37, acc116                     // 
v_accvgpr_read_b32 v10, acc5                       // 
v_accvgpr_read_b32 v14, acc21                      // 
v_accvgpr_read_b32 v18, acc37                      // 
v_accvgpr_read_b32 v22, acc53                      // 
v_accvgpr_read_b32 v26, acc69                      // 
v_accvgpr_read_b32 v30, acc85                      // 
v_accvgpr_read_b32 v34, acc101                     // 
v_accvgpr_read_b32 v38, acc117                     // 
v_accvgpr_read_b32 v11, acc6                       // 
v_accvgpr_read_b32 v15, acc22                      // 
v_accvgpr_read_b32 v19, acc38                      // 
v_accvgpr_read_b32 v23, acc54                      // 
v_accvgpr_read_b32 v27, acc70                      // 
v_accvgpr_read_b32 v31, acc86                      // 
v_accvgpr_read_b32 v35, acc102                     // 
v_accvgpr_read_b32 v39, acc118                     // 
s_nop 1                                            // v_accvgpr read vgpr after write vgpr: 2 wait states
ds_bpermute_b32 v8, v6, v8, offset:128             // permute edge values
ds_bpermute_b32 v12, v6, v12, offset:128           // permute edge values
ds_bpermute_b32 v16, v6, v16, offset:128           // permute edge values
	;; [unrolled: 1-line block ×7, first 2 shown]
s_waitcnt lgkmcnt(0)                               // wait for swizzle operation
s_mov_b32 s54, 1                                   // which thread need to shfit in this block
_v_cmpx_eq_u32 s[54:55], v7, s54                   // is thread in edge glvw region
s_nop 3                                            // wait for exec mask
v_accvgpr_write_b32 acc0, v8                       // 
v_accvgpr_write_b32 acc16, v12                     // 
v_accvgpr_write_b32 acc32, v16                     // 
v_accvgpr_write_b32 acc48, v20                     // 
v_accvgpr_write_b32 acc64, v24                     // 
v_accvgpr_write_b32 acc80, v28                     // 
v_accvgpr_write_b32 acc96, v32                     // 
v_accvgpr_write_b32 acc112, v36                    // 
v_accvgpr_write_b32 acc1, v9                       // 
v_accvgpr_write_b32 acc17, v13                     // 
v_accvgpr_write_b32 acc33, v17                     // 
v_accvgpr_write_b32 acc49, v21                     // 
v_accvgpr_write_b32 acc65, v25                     // 
v_accvgpr_write_b32 acc81, v29                     // 
v_accvgpr_write_b32 acc97, v33                     // 
v_accvgpr_write_b32 acc113, v37                    // 
v_accvgpr_write_b32 acc2, v10                      // 
v_accvgpr_write_b32 acc18, v14                     // 
v_accvgpr_write_b32 acc34, v18                     // 
v_accvgpr_write_b32 acc50, v22                     // 
v_accvgpr_write_b32 acc66, v26                     // 
v_accvgpr_write_b32 acc82, v30                     // 
v_accvgpr_write_b32 acc98, v34                     // 
v_accvgpr_write_b32 acc114, v38                    // 
v_accvgpr_write_b32 acc3, v11                      // 
v_accvgpr_write_b32 acc19, v15                     // 
v_accvgpr_write_b32 acc35, v19                     // 
v_accvgpr_write_b32 acc51, v23                     // 
v_accvgpr_write_b32 acc67, v27                     // 
v_accvgpr_write_b32 acc83, v31                     // 
v_accvgpr_write_b32 acc99, v35                     // 
v_accvgpr_write_b32 acc115, v39                    // 
s_mov_b64 s[54:55], 0xFFFFFFFFFFFFFFFF             // to restore all threads active
s_or_saveexec_b64 vcc, s[54:55]                    // all threads active
s_nop 3                                            // wait for exec mask
v_accvgpr_read_b32 v8, acc7                        // 
v_accvgpr_read_b32 v12, acc23                      // 
v_accvgpr_read_b32 v16, acc39                      // 
v_accvgpr_read_b32 v20, acc55                      // 
v_accvgpr_read_b32 v24, acc71                      // 
v_accvgpr_read_b32 v28, acc87                      // 
v_accvgpr_read_b32 v32, acc103                     // 
v_accvgpr_read_b32 v36, acc119                     // 
s_nop 1                                            // v_accvgpr read vgpr after write vgpr: 2 wait states
ds_bpermute_b32 v8, v6, v8, offset:128             // permute edge values
ds_bpermute_b32 v12, v6, v12, offset:128           // permute edge values
ds_bpermute_b32 v16, v6, v16, offset:128           // permute edge values
	;; [unrolled: 1-line block ×7, first 2 shown]
s_waitcnt lgkmcnt(0)                               // wait for swizzle operation
s_mov_b32 s54, 0                                   // which thread need to shfit in this block
_v_cmpx_eq_u32 s[54:55], v7, s54                   // is thread in edge glvw region
s_nop 3                                            // wait for exec mask
v_accvgpr_write_b32 acc4, v8                       // 
v_accvgpr_write_b32 acc20, v12                     // 
v_accvgpr_write_b32 acc36, v16                     // 
v_accvgpr_write_b32 acc52, v20                     // 
v_accvgpr_write_b32 acc68, v24                     // 
v_accvgpr_write_b32 acc84, v28                     // 
v_accvgpr_write_b32 acc100, v32                    // 
v_accvgpr_write_b32 acc116, v36                    // 
s_mov_b64 s[54:55], 0xFFFFFFFFFFFFFFFF             // to restore all threads active
s_or_saveexec_b64 vcc, s[54:55]                    // all threads active
s_nop 3                                            // wait for exec mask
s_branch label_0074                                // done

/******************************************/
/* shift d0 shift=9 glvwblk=1             */
/******************************************/
label_0055:
v_and_b32 v6, 63, v[vgprSerial]                    // permute register between threads
v_lshlrev_b32 v6, 0x2, v6                          // permute register between threads
v_lshrrev_b32 v0, 5, v[vgprSerial]                 // v0 = v[vgprSerial] / 32
v_and_b32 v7, 1, v0                                // v7 = v0 % 2
v_accvgpr_read_b32 v8, acc11                       // 
v_accvgpr_read_b32 v12, acc27                      // 
v_accvgpr_read_b32 v16, acc43                      // 
v_accvgpr_read_b32 v20, acc59                      // 
v_accvgpr_read_b32 v24, acc75                      // 
v_accvgpr_read_b32 v28, acc91                      // 
v_accvgpr_read_b32 v32, acc107                     // 
v_accvgpr_read_b32 v36, acc123                     // 
v_accvgpr_read_b32 v9, acc12                       // 
v_accvgpr_read_b32 v13, acc28                      // 
v_accvgpr_read_b32 v17, acc44                      // 
v_accvgpr_read_b32 v21, acc60                      // 
v_accvgpr_read_b32 v25, acc76                      // 
v_accvgpr_read_b32 v29, acc92                      // 
v_accvgpr_read_b32 v33, acc108                     // 
v_accvgpr_read_b32 v37, acc124                     // 
v_accvgpr_read_b32 v10, acc13                      // 
v_accvgpr_read_b32 v14, acc29                      // 
v_accvgpr_read_b32 v18, acc45                      // 
v_accvgpr_read_b32 v22, acc61                      // 
v_accvgpr_read_b32 v26, acc77                      // 
v_accvgpr_read_b32 v30, acc93                      // 
v_accvgpr_read_b32 v34, acc109                     // 
v_accvgpr_read_b32 v38, acc125                     // 
v_accvgpr_read_b32 v11, acc14                      // 
v_accvgpr_read_b32 v15, acc30                      // 
v_accvgpr_read_b32 v19, acc46                      // 
v_accvgpr_read_b32 v23, acc62                      // 
v_accvgpr_read_b32 v27, acc78                      // 
v_accvgpr_read_b32 v31, acc94                      // 
v_accvgpr_read_b32 v35, acc110                     // 
v_accvgpr_read_b32 v39, acc126                     // 
s_nop 1                                            // v_accvgpr read vgpr after write vgpr: 2 wait states
ds_bpermute_b32 v8, v6, v8, offset:128             // permute edge values
ds_bpermute_b32 v12, v6, v12, offset:128           // permute edge values
ds_bpermute_b32 v16, v6, v16, offset:128           // permute edge values
	;; [unrolled: 1-line block ×7, first 2 shown]
s_waitcnt lgkmcnt(0)                               // wait for swizzle operation
s_mov_b32 s54, 0                                   // which thread need to shfit in this block
_v_cmpx_eq_u32 s[54:55], v7, s54                   // is thread in edge glvw region
s_nop 3                                            // wait for exec mask
v_accvgpr_write_b32 acc8, v8                       // 
v_accvgpr_write_b32 acc24, v12                     // 
v_accvgpr_write_b32 acc40, v16                     // 
v_accvgpr_write_b32 acc56, v20                     // 
v_accvgpr_write_b32 acc72, v24                     // 
v_accvgpr_write_b32 acc88, v28                     // 
v_accvgpr_write_b32 acc104, v32                    // 
v_accvgpr_write_b32 acc120, v36                    // 
v_accvgpr_write_b32 acc9, v9                       // 
v_accvgpr_write_b32 acc25, v13                     // 
v_accvgpr_write_b32 acc41, v17                     // 
v_accvgpr_write_b32 acc57, v21                     // 
v_accvgpr_write_b32 acc73, v25                     // 
v_accvgpr_write_b32 acc89, v29                     // 
v_accvgpr_write_b32 acc105, v33                    // 
v_accvgpr_write_b32 acc121, v37                    // 
v_accvgpr_write_b32 acc10, v10                     // 
v_accvgpr_write_b32 acc26, v14                     // 
v_accvgpr_write_b32 acc42, v18                     // 
v_accvgpr_write_b32 acc58, v22                     // 
v_accvgpr_write_b32 acc74, v26                     // 
v_accvgpr_write_b32 acc90, v30                     // 
v_accvgpr_write_b32 acc106, v34                    // 
v_accvgpr_write_b32 acc122, v38                    // 
v_accvgpr_write_b32 acc11, v11                     // 
v_accvgpr_write_b32 acc27, v15                     // 
v_accvgpr_write_b32 acc43, v19                     // 
v_accvgpr_write_b32 acc59, v23                     // 
v_accvgpr_write_b32 acc75, v27                     // 
v_accvgpr_write_b32 acc91, v31                     // 
v_accvgpr_write_b32 acc107, v35                    // 
v_accvgpr_write_b32 acc123, v39                    // 
s_mov_b64 s[54:55], 0xFFFFFFFFFFFFFFFF             // to restore all threads active
s_or_saveexec_b64 vcc, s[54:55]                    // all threads active
s_nop 3                                            // wait for exec mask
v_accvgpr_read_b32 v8, acc15                       // 
v_accvgpr_read_b32 v12, acc31                      // 
v_accvgpr_read_b32 v16, acc47                      // 
v_accvgpr_read_b32 v20, acc63                      // 
v_accvgpr_read_b32 v24, acc79                      // 
v_accvgpr_read_b32 v28, acc95                      // 
v_accvgpr_read_b32 v32, acc111                     // 
v_accvgpr_read_b32 v36, acc127                     // 
v_accvgpr_read_b32 v9, acc12                       // 
v_accvgpr_read_b32 v13, acc28                      // 
v_accvgpr_read_b32 v17, acc44                      // 
v_accvgpr_read_b32 v21, acc60                      // 
v_accvgpr_read_b32 v25, acc76                      // 
v_accvgpr_read_b32 v29, acc92                      // 
v_accvgpr_read_b32 v33, acc108                     // 
v_accvgpr_read_b32 v37, acc124                     // 
v_accvgpr_read_b32 v10, acc13                      // 
v_accvgpr_read_b32 v14, acc29                      // 
v_accvgpr_read_b32 v18, acc45                      // 
v_accvgpr_read_b32 v22, acc61                      // 
v_accvgpr_read_b32 v26, acc77                      // 
v_accvgpr_read_b32 v30, acc93                      // 
v_accvgpr_read_b32 v34, acc109                     // 
v_accvgpr_read_b32 v38, acc125                     // 
v_accvgpr_read_b32 v11, acc14                      // 
v_accvgpr_read_b32 v15, acc30                      // 
v_accvgpr_read_b32 v19, acc46                      // 
v_accvgpr_read_b32 v23, acc62                      // 
v_accvgpr_read_b32 v27, acc78                      // 
v_accvgpr_read_b32 v31, acc94                      // 
v_accvgpr_read_b32 v35, acc110                     // 
v_accvgpr_read_b32 v39, acc126                     // 
s_nop 1                                            // v_accvgpr read vgpr after write vgpr: 2 wait states
ds_bpermute_b32 v8, v6, v8, offset:128             // permute edge values
ds_bpermute_b32 v12, v6, v12, offset:128           // permute edge values
ds_bpermute_b32 v16, v6, v16, offset:128           // permute edge values
	;; [unrolled: 1-line block ×7, first 2 shown]
s_waitcnt lgkmcnt(0)                               // wait for swizzle operation
s_mov_b32 s54, 1                                   // which thread need to shfit in this block
_v_cmpx_eq_u32 s[54:55], v7, s54                   // is thread in edge glvw region
s_nop 3                                            // wait for exec mask
v_accvgpr_write_b32 acc8, v8                       // 
v_accvgpr_write_b32 acc24, v12                     // 
v_accvgpr_write_b32 acc40, v16                     // 
v_accvgpr_write_b32 acc56, v20                     // 
v_accvgpr_write_b32 acc72, v24                     // 
v_accvgpr_write_b32 acc88, v28                     // 
v_accvgpr_write_b32 acc104, v32                    // 
v_accvgpr_write_b32 acc120, v36                    // 
v_accvgpr_write_b32 acc9, v9                       // 
v_accvgpr_write_b32 acc25, v13                     // 
v_accvgpr_write_b32 acc41, v17                     // 
v_accvgpr_write_b32 acc57, v21                     // 
v_accvgpr_write_b32 acc73, v25                     // 
v_accvgpr_write_b32 acc89, v29                     // 
v_accvgpr_write_b32 acc105, v33                    // 
v_accvgpr_write_b32 acc121, v37                    // 
v_accvgpr_write_b32 acc10, v10                     // 
v_accvgpr_write_b32 acc26, v14                     // 
v_accvgpr_write_b32 acc42, v18                     // 
v_accvgpr_write_b32 acc58, v22                     // 
v_accvgpr_write_b32 acc74, v26                     // 
v_accvgpr_write_b32 acc90, v30                     // 
v_accvgpr_write_b32 acc106, v34                    // 
v_accvgpr_write_b32 acc122, v38                    // 
v_accvgpr_write_b32 acc11, v11                     // 
v_accvgpr_write_b32 acc27, v15                     // 
v_accvgpr_write_b32 acc43, v19                     // 
v_accvgpr_write_b32 acc59, v23                     // 
v_accvgpr_write_b32 acc75, v27                     // 
v_accvgpr_write_b32 acc91, v31                     // 
v_accvgpr_write_b32 acc107, v35                    // 
v_accvgpr_write_b32 acc123, v39                    // 
s_mov_b64 s[54:55], 0xFFFFFFFFFFFFFFFF             // to restore all threads active
s_or_saveexec_b64 vcc, s[54:55]                    // all threads active
s_nop 3                                            // wait for exec mask
v_accvgpr_read_b32 v8, acc15                       // 
v_accvgpr_read_b32 v12, acc31                      // 
v_accvgpr_read_b32 v16, acc47                      // 
v_accvgpr_read_b32 v20, acc63                      // 
v_accvgpr_read_b32 v24, acc79                      // 
v_accvgpr_read_b32 v28, acc95                      // 
v_accvgpr_read_b32 v32, acc111                     // 
v_accvgpr_read_b32 v36, acc127                     // 
s_nop 1                                            // v_accvgpr read vgpr after write vgpr: 2 wait states
ds_bpermute_b32 v8, v6, v8, offset:128             // permute edge values
ds_bpermute_b32 v12, v6, v12, offset:128           // permute edge values
ds_bpermute_b32 v16, v6, v16, offset:128           // permute edge values
	;; [unrolled: 1-line block ×7, first 2 shown]
s_waitcnt lgkmcnt(0)                               // wait for swizzle operation
s_mov_b32 s54, 0                                   // which thread need to shfit in this block
_v_cmpx_eq_u32 s[54:55], v7, s54                   // is thread in edge glvw region
s_nop 3                                            // wait for exec mask
v_accvgpr_write_b32 acc12, v8                      // 
v_accvgpr_write_b32 acc28, v12                     // 
v_accvgpr_write_b32 acc44, v16                     // 
v_accvgpr_write_b32 acc60, v20                     // 
v_accvgpr_write_b32 acc76, v24                     // 
v_accvgpr_write_b32 acc92, v28                     // 
v_accvgpr_write_b32 acc108, v32                    // 
v_accvgpr_write_b32 acc124, v36                    // 
s_mov_b64 s[54:55], 0xFFFFFFFFFFFFFFFF             // to restore all threads active
s_or_saveexec_b64 vcc, s[54:55]                    // all threads active
s_nop 3                                            // wait for exec mask
s_branch label_0074                                // done

/******************************************/
/* shift d0 shift=10 glvwblk=0            */
/******************************************/
label_0057:
v_and_b32 v6, 63, v[vgprSerial]                    // permute register between threads
v_lshlrev_b32 v6, 0x2, v6                          // permute register between threads
v_lshrrev_b32 v0, 5, v[vgprSerial]                 // v0 = v[vgprSerial] / 32
v_and_b32 v7, 1, v0                                // v7 = v0 % 2
v_accvgpr_read_b32 v8, acc2                        // 
v_accvgpr_read_b32 v12, acc18                      // 
v_accvgpr_read_b32 v16, acc34                      // 
v_accvgpr_read_b32 v20, acc50                      // 
v_accvgpr_read_b32 v24, acc66                      // 
v_accvgpr_read_b32 v28, acc82                      // 
v_accvgpr_read_b32 v32, acc98                      // 
v_accvgpr_read_b32 v36, acc114                     // 
v_accvgpr_read_b32 v9, acc3                        // 
v_accvgpr_read_b32 v13, acc19                      // 
v_accvgpr_read_b32 v17, acc35                      // 
v_accvgpr_read_b32 v21, acc51                      // 
v_accvgpr_read_b32 v25, acc67                      // 
v_accvgpr_read_b32 v29, acc83                      // 
v_accvgpr_read_b32 v33, acc99                      // 
v_accvgpr_read_b32 v37, acc115                     // 
v_accvgpr_read_b32 v10, acc4                       // 
v_accvgpr_read_b32 v14, acc20                      // 
v_accvgpr_read_b32 v18, acc36                      // 
v_accvgpr_read_b32 v22, acc52                      // 
v_accvgpr_read_b32 v26, acc68                      // 
v_accvgpr_read_b32 v30, acc84                      // 
v_accvgpr_read_b32 v34, acc100                     // 
v_accvgpr_read_b32 v38, acc116                     // 
v_accvgpr_read_b32 v11, acc5                       // 
v_accvgpr_read_b32 v15, acc21                      // 
v_accvgpr_read_b32 v19, acc37                      // 
v_accvgpr_read_b32 v23, acc53                      // 
v_accvgpr_read_b32 v27, acc69                      // 
v_accvgpr_read_b32 v31, acc85                      // 
v_accvgpr_read_b32 v35, acc101                     // 
v_accvgpr_read_b32 v39, acc117                     // 
s_nop 1                                            // v_accvgpr read vgpr after write vgpr: 2 wait states
ds_bpermute_b32 v8, v6, v8, offset:128             // permute edge values
ds_bpermute_b32 v12, v6, v12, offset:128           // permute edge values
ds_bpermute_b32 v16, v6, v16, offset:128           // permute edge values
	;; [unrolled: 1-line block ×7, first 2 shown]
ds_bpermute_b32 v9, v6, v9, offset:128             // permute edge values
ds_bpermute_b32 v13, v6, v13, offset:128           // permute edge values
ds_bpermute_b32 v17, v6, v17, offset:128           // permute edge values
ds_bpermute_b32 v21, v6, v21, offset:128           // permute edge values
ds_bpermute_b32 v25, v6, v25, offset:128           // permute edge values
ds_bpermute_b32 v29, v6, v29, offset:128           // permute edge values
ds_bpermute_b32 v33, v6, v33, offset:128           // permute edge values
ds_bpermute_b32 v37, v6, v37, offset:128           // permute edge values
s_waitcnt lgkmcnt(0)                               // wait for swizzle operation
s_mov_b32 s54, 0                                   // which thread need to shfit in this block
_v_cmpx_eq_u32 s[54:55], v7, s54                   // is thread in edge glvw region
s_nop 3                                            // wait for exec mask
v_accvgpr_write_b32 acc0, v8                       // 
v_accvgpr_write_b32 acc16, v12                     // 
v_accvgpr_write_b32 acc32, v16                     // 
v_accvgpr_write_b32 acc48, v20                     // 
v_accvgpr_write_b32 acc64, v24                     // 
v_accvgpr_write_b32 acc80, v28                     // 
v_accvgpr_write_b32 acc96, v32                     // 
v_accvgpr_write_b32 acc112, v36                    // 
v_accvgpr_write_b32 acc1, v9                       // 
v_accvgpr_write_b32 acc17, v13                     // 
v_accvgpr_write_b32 acc33, v17                     // 
v_accvgpr_write_b32 acc49, v21                     // 
v_accvgpr_write_b32 acc65, v25                     // 
v_accvgpr_write_b32 acc81, v29                     // 
v_accvgpr_write_b32 acc97, v33                     // 
v_accvgpr_write_b32 acc113, v37                    // 
v_accvgpr_write_b32 acc2, v10                      // 
v_accvgpr_write_b32 acc18, v14                     // 
v_accvgpr_write_b32 acc34, v18                     // 
v_accvgpr_write_b32 acc50, v22                     // 
v_accvgpr_write_b32 acc66, v26                     // 
v_accvgpr_write_b32 acc82, v30                     // 
v_accvgpr_write_b32 acc98, v34                     // 
v_accvgpr_write_b32 acc114, v38                    // 
v_accvgpr_write_b32 acc3, v11                      // 
v_accvgpr_write_b32 acc19, v15                     // 
v_accvgpr_write_b32 acc35, v19                     // 
v_accvgpr_write_b32 acc51, v23                     // 
v_accvgpr_write_b32 acc67, v27                     // 
v_accvgpr_write_b32 acc83, v31                     // 
v_accvgpr_write_b32 acc99, v35                     // 
v_accvgpr_write_b32 acc115, v39                    // 
s_mov_b64 s[54:55], 0xFFFFFFFFFFFFFFFF             // to restore all threads active
s_or_saveexec_b64 vcc, s[54:55]                    // all threads active
s_nop 3                                            // wait for exec mask
v_accvgpr_read_b32 v8, acc6                        // 
v_accvgpr_read_b32 v12, acc22                      // 
v_accvgpr_read_b32 v16, acc38                      // 
v_accvgpr_read_b32 v20, acc54                      // 
v_accvgpr_read_b32 v24, acc70                      // 
v_accvgpr_read_b32 v28, acc86                      // 
v_accvgpr_read_b32 v32, acc102                     // 
v_accvgpr_read_b32 v36, acc118                     // 
v_accvgpr_read_b32 v9, acc7                        // 
v_accvgpr_read_b32 v13, acc23                      // 
v_accvgpr_read_b32 v17, acc39                      // 
v_accvgpr_read_b32 v21, acc55                      // 
v_accvgpr_read_b32 v25, acc71                      // 
v_accvgpr_read_b32 v29, acc87                      // 
v_accvgpr_read_b32 v33, acc103                     // 
v_accvgpr_read_b32 v37, acc119                     // 
v_accvgpr_read_b32 v10, acc4                       // 
v_accvgpr_read_b32 v14, acc20                      // 
v_accvgpr_read_b32 v18, acc36                      // 
v_accvgpr_read_b32 v22, acc52                      // 
v_accvgpr_read_b32 v26, acc68                      // 
v_accvgpr_read_b32 v30, acc84                      // 
v_accvgpr_read_b32 v34, acc100                     // 
v_accvgpr_read_b32 v38, acc116                     // 
v_accvgpr_read_b32 v11, acc5                       // 
v_accvgpr_read_b32 v15, acc21                      // 
v_accvgpr_read_b32 v19, acc37                      // 
v_accvgpr_read_b32 v23, acc53                      // 
v_accvgpr_read_b32 v27, acc69                      // 
v_accvgpr_read_b32 v31, acc85                      // 
v_accvgpr_read_b32 v35, acc101                     // 
v_accvgpr_read_b32 v39, acc117                     // 
s_nop 1                                            // v_accvgpr read vgpr after write vgpr: 2 wait states
ds_bpermute_b32 v8, v6, v8, offset:128             // permute edge values
ds_bpermute_b32 v12, v6, v12, offset:128           // permute edge values
ds_bpermute_b32 v16, v6, v16, offset:128           // permute edge values
	;; [unrolled: 1-line block ×7, first 2 shown]
ds_bpermute_b32 v9, v6, v9, offset:128             // permute edge values
ds_bpermute_b32 v13, v6, v13, offset:128           // permute edge values
ds_bpermute_b32 v17, v6, v17, offset:128           // permute edge values
	;; [unrolled: 1-line block ×7, first 2 shown]
s_waitcnt lgkmcnt(0)                               // wait for swizzle operation
s_mov_b32 s54, 1                                   // which thread need to shfit in this block
_v_cmpx_eq_u32 s[54:55], v7, s54                   // is thread in edge glvw region
s_nop 3                                            // wait for exec mask
v_accvgpr_write_b32 acc0, v8                       // 
v_accvgpr_write_b32 acc16, v12                     // 
v_accvgpr_write_b32 acc32, v16                     // 
v_accvgpr_write_b32 acc48, v20                     // 
v_accvgpr_write_b32 acc64, v24                     // 
v_accvgpr_write_b32 acc80, v28                     // 
v_accvgpr_write_b32 acc96, v32                     // 
v_accvgpr_write_b32 acc112, v36                    // 
v_accvgpr_write_b32 acc1, v9                       // 
v_accvgpr_write_b32 acc17, v13                     // 
v_accvgpr_write_b32 acc33, v17                     // 
v_accvgpr_write_b32 acc49, v21                     // 
v_accvgpr_write_b32 acc65, v25                     // 
v_accvgpr_write_b32 acc81, v29                     // 
v_accvgpr_write_b32 acc97, v33                     // 
v_accvgpr_write_b32 acc113, v37                    // 
v_accvgpr_write_b32 acc2, v10                      // 
v_accvgpr_write_b32 acc18, v14                     // 
v_accvgpr_write_b32 acc34, v18                     // 
v_accvgpr_write_b32 acc50, v22                     // 
v_accvgpr_write_b32 acc66, v26                     // 
v_accvgpr_write_b32 acc82, v30                     // 
v_accvgpr_write_b32 acc98, v34                     // 
v_accvgpr_write_b32 acc114, v38                    // 
v_accvgpr_write_b32 acc3, v11                      // 
v_accvgpr_write_b32 acc19, v15                     // 
v_accvgpr_write_b32 acc35, v19                     // 
v_accvgpr_write_b32 acc51, v23                     // 
v_accvgpr_write_b32 acc67, v27                     // 
v_accvgpr_write_b32 acc83, v31                     // 
v_accvgpr_write_b32 acc99, v35                     // 
v_accvgpr_write_b32 acc115, v39                    // 
s_mov_b64 s[54:55], 0xFFFFFFFFFFFFFFFF             // to restore all threads active
s_or_saveexec_b64 vcc, s[54:55]                    // all threads active
s_nop 3                                            // wait for exec mask
v_accvgpr_read_b32 v8, acc6                        // 
v_accvgpr_read_b32 v12, acc22                      // 
v_accvgpr_read_b32 v16, acc38                      // 
v_accvgpr_read_b32 v20, acc54                      // 
v_accvgpr_read_b32 v24, acc70                      // 
v_accvgpr_read_b32 v28, acc86                      // 
v_accvgpr_read_b32 v32, acc102                     // 
v_accvgpr_read_b32 v36, acc118                     // 
v_accvgpr_read_b32 v9, acc7                        // 
v_accvgpr_read_b32 v13, acc23                      // 
v_accvgpr_read_b32 v17, acc39                      // 
v_accvgpr_read_b32 v21, acc55                      // 
v_accvgpr_read_b32 v25, acc71                      // 
v_accvgpr_read_b32 v29, acc87                      // 
v_accvgpr_read_b32 v33, acc103                     // 
v_accvgpr_read_b32 v37, acc119                     // 
s_nop 1                                            // v_accvgpr read vgpr after write vgpr: 2 wait states
ds_bpermute_b32 v8, v6, v8, offset:128             // permute edge values
ds_bpermute_b32 v12, v6, v12, offset:128           // permute edge values
ds_bpermute_b32 v16, v6, v16, offset:128           // permute edge values
	;; [unrolled: 1-line block ×7, first 2 shown]
ds_bpermute_b32 v9, v6, v9, offset:128             // permute edge values
ds_bpermute_b32 v13, v6, v13, offset:128           // permute edge values
ds_bpermute_b32 v17, v6, v17, offset:128           // permute edge values
	;; [unrolled: 1-line block ×7, first 2 shown]
s_waitcnt lgkmcnt(0)                               // wait for swizzle operation
s_mov_b32 s54, 0                                   // which thread need to shfit in this block
_v_cmpx_eq_u32 s[54:55], v7, s54                   // is thread in edge glvw region
s_nop 3                                            // wait for exec mask
v_accvgpr_write_b32 acc4, v8                       // 
v_accvgpr_write_b32 acc20, v12                     // 
v_accvgpr_write_b32 acc36, v16                     // 
v_accvgpr_write_b32 acc52, v20                     // 
v_accvgpr_write_b32 acc68, v24                     // 
v_accvgpr_write_b32 acc84, v28                     // 
v_accvgpr_write_b32 acc100, v32                    // 
v_accvgpr_write_b32 acc116, v36                    // 
v_accvgpr_write_b32 acc5, v9                       // 
v_accvgpr_write_b32 acc21, v13                     // 
v_accvgpr_write_b32 acc37, v17                     // 
v_accvgpr_write_b32 acc53, v21                     // 
v_accvgpr_write_b32 acc69, v25                     // 
v_accvgpr_write_b32 acc85, v29                     // 
v_accvgpr_write_b32 acc101, v33                    // 
v_accvgpr_write_b32 acc117, v37                    // 
s_mov_b64 s[54:55], 0xFFFFFFFFFFFFFFFF             // to restore all threads active
s_or_saveexec_b64 vcc, s[54:55]                    // all threads active
s_nop 3                                            // wait for exec mask
s_branch label_0074                                // done

/******************************************/
/* shift d0 shift=10 glvwblk=1            */
/******************************************/
label_0058:
v_and_b32 v6, 63, v[vgprSerial]                    // permute register between threads
v_lshlrev_b32 v6, 0x2, v6                          // permute register between threads
v_lshrrev_b32 v0, 5, v[vgprSerial]                 // v0 = v[vgprSerial] / 32
v_and_b32 v7, 1, v0                                // v7 = v0 % 2
v_accvgpr_read_b32 v8, acc10                       // 
v_accvgpr_read_b32 v12, acc26                      // 
v_accvgpr_read_b32 v16, acc42                      // 
v_accvgpr_read_b32 v20, acc58                      // 
v_accvgpr_read_b32 v24, acc74                      // 
v_accvgpr_read_b32 v28, acc90                      // 
v_accvgpr_read_b32 v32, acc106                     // 
v_accvgpr_read_b32 v36, acc122                     // 
v_accvgpr_read_b32 v9, acc11                       // 
v_accvgpr_read_b32 v13, acc27                      // 
v_accvgpr_read_b32 v17, acc43                      // 
v_accvgpr_read_b32 v21, acc59                      // 
v_accvgpr_read_b32 v25, acc75                      // 
v_accvgpr_read_b32 v29, acc91                      // 
v_accvgpr_read_b32 v33, acc107                     // 
v_accvgpr_read_b32 v37, acc123                     // 
v_accvgpr_read_b32 v10, acc12                      // 
v_accvgpr_read_b32 v14, acc28                      // 
v_accvgpr_read_b32 v18, acc44                      // 
v_accvgpr_read_b32 v22, acc60                      // 
v_accvgpr_read_b32 v26, acc76                      // 
v_accvgpr_read_b32 v30, acc92                      // 
v_accvgpr_read_b32 v34, acc108                     // 
v_accvgpr_read_b32 v38, acc124                     // 
v_accvgpr_read_b32 v11, acc13                      // 
v_accvgpr_read_b32 v15, acc29                      // 
v_accvgpr_read_b32 v19, acc45                      // 
v_accvgpr_read_b32 v23, acc61                      // 
v_accvgpr_read_b32 v27, acc77                      // 
v_accvgpr_read_b32 v31, acc93                      // 
v_accvgpr_read_b32 v35, acc109                     // 
v_accvgpr_read_b32 v39, acc125                     // 
s_nop 1                                            // v_accvgpr read vgpr after write vgpr: 2 wait states
ds_bpermute_b32 v8, v6, v8, offset:128             // permute edge values
ds_bpermute_b32 v12, v6, v12, offset:128           // permute edge values
ds_bpermute_b32 v16, v6, v16, offset:128           // permute edge values
	;; [unrolled: 1-line block ×7, first 2 shown]
ds_bpermute_b32 v9, v6, v9, offset:128             // permute edge values
ds_bpermute_b32 v13, v6, v13, offset:128           // permute edge values
ds_bpermute_b32 v17, v6, v17, offset:128           // permute edge values
	;; [unrolled: 1-line block ×7, first 2 shown]
s_waitcnt lgkmcnt(0)                               // wait for swizzle operation
s_mov_b32 s54, 0                                   // which thread need to shfit in this block
_v_cmpx_eq_u32 s[54:55], v7, s54                   // is thread in edge glvw region
s_nop 3                                            // wait for exec mask
v_accvgpr_write_b32 acc8, v8                       // 
v_accvgpr_write_b32 acc24, v12                     // 
v_accvgpr_write_b32 acc40, v16                     // 
v_accvgpr_write_b32 acc56, v20                     // 
v_accvgpr_write_b32 acc72, v24                     // 
v_accvgpr_write_b32 acc88, v28                     // 
v_accvgpr_write_b32 acc104, v32                    // 
v_accvgpr_write_b32 acc120, v36                    // 
v_accvgpr_write_b32 acc9, v9                       // 
v_accvgpr_write_b32 acc25, v13                     // 
v_accvgpr_write_b32 acc41, v17                     // 
v_accvgpr_write_b32 acc57, v21                     // 
v_accvgpr_write_b32 acc73, v25                     // 
v_accvgpr_write_b32 acc89, v29                     // 
v_accvgpr_write_b32 acc105, v33                    // 
v_accvgpr_write_b32 acc121, v37                    // 
v_accvgpr_write_b32 acc10, v10                     // 
v_accvgpr_write_b32 acc26, v14                     // 
v_accvgpr_write_b32 acc42, v18                     // 
v_accvgpr_write_b32 acc58, v22                     // 
v_accvgpr_write_b32 acc74, v26                     // 
v_accvgpr_write_b32 acc90, v30                     // 
v_accvgpr_write_b32 acc106, v34                    // 
v_accvgpr_write_b32 acc122, v38                    // 
v_accvgpr_write_b32 acc11, v11                     // 
v_accvgpr_write_b32 acc27, v15                     // 
v_accvgpr_write_b32 acc43, v19                     // 
v_accvgpr_write_b32 acc59, v23                     // 
v_accvgpr_write_b32 acc75, v27                     // 
v_accvgpr_write_b32 acc91, v31                     // 
v_accvgpr_write_b32 acc107, v35                    // 
v_accvgpr_write_b32 acc123, v39                    // 
s_mov_b64 s[54:55], 0xFFFFFFFFFFFFFFFF             // to restore all threads active
s_or_saveexec_b64 vcc, s[54:55]                    // all threads active
s_nop 3                                            // wait for exec mask
v_accvgpr_read_b32 v8, acc14                       // 
v_accvgpr_read_b32 v12, acc30                      // 
v_accvgpr_read_b32 v16, acc46                      // 
v_accvgpr_read_b32 v20, acc62                      // 
v_accvgpr_read_b32 v24, acc78                      // 
v_accvgpr_read_b32 v28, acc94                      // 
v_accvgpr_read_b32 v32, acc110                     // 
v_accvgpr_read_b32 v36, acc126                     // 
v_accvgpr_read_b32 v9, acc15                       // 
v_accvgpr_read_b32 v13, acc31                      // 
v_accvgpr_read_b32 v17, acc47                      // 
v_accvgpr_read_b32 v21, acc63                      // 
v_accvgpr_read_b32 v25, acc79                      // 
v_accvgpr_read_b32 v29, acc95                      // 
v_accvgpr_read_b32 v33, acc111                     // 
v_accvgpr_read_b32 v37, acc127                     // 
v_accvgpr_read_b32 v10, acc12                      // 
v_accvgpr_read_b32 v14, acc28                      // 
v_accvgpr_read_b32 v18, acc44                      // 
v_accvgpr_read_b32 v22, acc60                      // 
v_accvgpr_read_b32 v26, acc76                      // 
v_accvgpr_read_b32 v30, acc92                      // 
v_accvgpr_read_b32 v34, acc108                     // 
v_accvgpr_read_b32 v38, acc124                     // 
v_accvgpr_read_b32 v11, acc13                      // 
v_accvgpr_read_b32 v15, acc29                      // 
v_accvgpr_read_b32 v19, acc45                      // 
v_accvgpr_read_b32 v23, acc61                      // 
v_accvgpr_read_b32 v27, acc77                      // 
v_accvgpr_read_b32 v31, acc93                      // 
v_accvgpr_read_b32 v35, acc109                     // 
v_accvgpr_read_b32 v39, acc125                     // 
s_nop 1                                            // v_accvgpr read vgpr after write vgpr: 2 wait states
ds_bpermute_b32 v8, v6, v8, offset:128             // permute edge values
ds_bpermute_b32 v12, v6, v12, offset:128           // permute edge values
ds_bpermute_b32 v16, v6, v16, offset:128           // permute edge values
	;; [unrolled: 1-line block ×7, first 2 shown]
ds_bpermute_b32 v9, v6, v9, offset:128             // permute edge values
ds_bpermute_b32 v13, v6, v13, offset:128           // permute edge values
ds_bpermute_b32 v17, v6, v17, offset:128           // permute edge values
	;; [unrolled: 1-line block ×7, first 2 shown]
s_waitcnt lgkmcnt(0)                               // wait for swizzle operation
s_mov_b32 s54, 1                                   // which thread need to shfit in this block
_v_cmpx_eq_u32 s[54:55], v7, s54                   // is thread in edge glvw region
s_nop 3                                            // wait for exec mask
v_accvgpr_write_b32 acc8, v8                       // 
v_accvgpr_write_b32 acc24, v12                     // 
v_accvgpr_write_b32 acc40, v16                     // 
v_accvgpr_write_b32 acc56, v20                     // 
v_accvgpr_write_b32 acc72, v24                     // 
v_accvgpr_write_b32 acc88, v28                     // 
v_accvgpr_write_b32 acc104, v32                    // 
v_accvgpr_write_b32 acc120, v36                    // 
v_accvgpr_write_b32 acc9, v9                       // 
v_accvgpr_write_b32 acc25, v13                     // 
v_accvgpr_write_b32 acc41, v17                     // 
v_accvgpr_write_b32 acc57, v21                     // 
v_accvgpr_write_b32 acc73, v25                     // 
v_accvgpr_write_b32 acc89, v29                     // 
v_accvgpr_write_b32 acc105, v33                    // 
v_accvgpr_write_b32 acc121, v37                    // 
v_accvgpr_write_b32 acc10, v10                     // 
v_accvgpr_write_b32 acc26, v14                     // 
v_accvgpr_write_b32 acc42, v18                     // 
v_accvgpr_write_b32 acc58, v22                     // 
v_accvgpr_write_b32 acc74, v26                     // 
v_accvgpr_write_b32 acc90, v30                     // 
v_accvgpr_write_b32 acc106, v34                    // 
v_accvgpr_write_b32 acc122, v38                    // 
v_accvgpr_write_b32 acc11, v11                     // 
v_accvgpr_write_b32 acc27, v15                     // 
v_accvgpr_write_b32 acc43, v19                     // 
v_accvgpr_write_b32 acc59, v23                     // 
v_accvgpr_write_b32 acc75, v27                     // 
v_accvgpr_write_b32 acc91, v31                     // 
v_accvgpr_write_b32 acc107, v35                    // 
v_accvgpr_write_b32 acc123, v39                    // 
s_mov_b64 s[54:55], 0xFFFFFFFFFFFFFFFF             // to restore all threads active
s_or_saveexec_b64 vcc, s[54:55]                    // all threads active
s_nop 3                                            // wait for exec mask
v_accvgpr_read_b32 v8, acc14                       // 
v_accvgpr_read_b32 v12, acc30                      // 
v_accvgpr_read_b32 v16, acc46                      // 
v_accvgpr_read_b32 v20, acc62                      // 
v_accvgpr_read_b32 v24, acc78                      // 
v_accvgpr_read_b32 v28, acc94                      // 
v_accvgpr_read_b32 v32, acc110                     // 
v_accvgpr_read_b32 v36, acc126                     // 
v_accvgpr_read_b32 v9, acc15                       // 
v_accvgpr_read_b32 v13, acc31                      // 
v_accvgpr_read_b32 v17, acc47                      // 
v_accvgpr_read_b32 v21, acc63                      // 
v_accvgpr_read_b32 v25, acc79                      // 
v_accvgpr_read_b32 v29, acc95                      // 
v_accvgpr_read_b32 v33, acc111                     // 
v_accvgpr_read_b32 v37, acc127                     // 
s_nop 1                                            // v_accvgpr read vgpr after write vgpr: 2 wait states
ds_bpermute_b32 v8, v6, v8, offset:128             // permute edge values
ds_bpermute_b32 v12, v6, v12, offset:128           // permute edge values
ds_bpermute_b32 v16, v6, v16, offset:128           // permute edge values
	;; [unrolled: 1-line block ×7, first 2 shown]
ds_bpermute_b32 v9, v6, v9, offset:128             // permute edge values
ds_bpermute_b32 v13, v6, v13, offset:128           // permute edge values
ds_bpermute_b32 v17, v6, v17, offset:128           // permute edge values
	;; [unrolled: 1-line block ×7, first 2 shown]
s_waitcnt lgkmcnt(0)                               // wait for swizzle operation
s_mov_b32 s54, 0                                   // which thread need to shfit in this block
_v_cmpx_eq_u32 s[54:55], v7, s54                   // is thread in edge glvw region
s_nop 3                                            // wait for exec mask
v_accvgpr_write_b32 acc12, v8                      // 
v_accvgpr_write_b32 acc28, v12                     // 
v_accvgpr_write_b32 acc44, v16                     // 
v_accvgpr_write_b32 acc60, v20                     // 
v_accvgpr_write_b32 acc76, v24                     // 
v_accvgpr_write_b32 acc92, v28                     // 
v_accvgpr_write_b32 acc108, v32                    // 
v_accvgpr_write_b32 acc124, v36                    // 
v_accvgpr_write_b32 acc13, v9                      // 
v_accvgpr_write_b32 acc29, v13                     // 
v_accvgpr_write_b32 acc45, v17                     // 
v_accvgpr_write_b32 acc61, v21                     // 
v_accvgpr_write_b32 acc77, v25                     // 
v_accvgpr_write_b32 acc93, v29                     // 
v_accvgpr_write_b32 acc109, v33                    // 
v_accvgpr_write_b32 acc125, v37                    // 
s_mov_b64 s[54:55], 0xFFFFFFFFFFFFFFFF             // to restore all threads active
s_or_saveexec_b64 vcc, s[54:55]                    // all threads active
s_nop 3                                            // wait for exec mask
s_branch label_0074                                // done

/******************************************/
/* shift d0 shift=11 glvwblk=0            */
/******************************************/
label_0060:
v_and_b32 v6, 63, v[vgprSerial]                    // permute register between threads
v_lshlrev_b32 v6, 0x2, v6                          // permute register between threads
v_lshrrev_b32 v0, 5, v[vgprSerial]                 // v0 = v[vgprSerial] / 32
v_and_b32 v7, 1, v0                                // v7 = v0 % 2
v_accvgpr_read_b32 v8, acc1                        // 
v_accvgpr_read_b32 v12, acc17                      // 
v_accvgpr_read_b32 v16, acc33                      // 
v_accvgpr_read_b32 v20, acc49                      // 
v_accvgpr_read_b32 v24, acc65                      // 
v_accvgpr_read_b32 v28, acc81                      // 
v_accvgpr_read_b32 v32, acc97                      // 
v_accvgpr_read_b32 v36, acc113                     // 
v_accvgpr_read_b32 v9, acc2                        // 
v_accvgpr_read_b32 v13, acc18                      // 
v_accvgpr_read_b32 v17, acc34                      // 
v_accvgpr_read_b32 v21, acc50                      // 
v_accvgpr_read_b32 v25, acc66                      // 
v_accvgpr_read_b32 v29, acc82                      // 
v_accvgpr_read_b32 v33, acc98                      // 
v_accvgpr_read_b32 v37, acc114                     // 
v_accvgpr_read_b32 v10, acc3                       // 
v_accvgpr_read_b32 v14, acc19                      // 
v_accvgpr_read_b32 v18, acc35                      // 
v_accvgpr_read_b32 v22, acc51                      // 
v_accvgpr_read_b32 v26, acc67                      // 
v_accvgpr_read_b32 v30, acc83                      // 
v_accvgpr_read_b32 v34, acc99                      // 
v_accvgpr_read_b32 v38, acc115                     // 
v_accvgpr_read_b32 v11, acc4                       // 
v_accvgpr_read_b32 v15, acc20                      // 
v_accvgpr_read_b32 v19, acc36                      // 
v_accvgpr_read_b32 v23, acc52                      // 
v_accvgpr_read_b32 v27, acc68                      // 
v_accvgpr_read_b32 v31, acc84                      // 
v_accvgpr_read_b32 v35, acc100                     // 
v_accvgpr_read_b32 v39, acc116                     // 
s_nop 1                                            // v_accvgpr read vgpr after write vgpr: 2 wait states
ds_bpermute_b32 v8, v6, v8, offset:128             // permute edge values
ds_bpermute_b32 v12, v6, v12, offset:128           // permute edge values
ds_bpermute_b32 v16, v6, v16, offset:128           // permute edge values
	;; [unrolled: 1-line block ×7, first 2 shown]
ds_bpermute_b32 v9, v6, v9, offset:128             // permute edge values
ds_bpermute_b32 v13, v6, v13, offset:128           // permute edge values
ds_bpermute_b32 v17, v6, v17, offset:128           // permute edge values
	;; [unrolled: 1-line block ×15, first 2 shown]
s_waitcnt lgkmcnt(0)                               // wait for swizzle operation
s_mov_b32 s54, 0                                   // which thread need to shfit in this block
_v_cmpx_eq_u32 s[54:55], v7, s54                   // is thread in edge glvw region
s_nop 3                                            // wait for exec mask
v_accvgpr_write_b32 acc0, v8                       // 
v_accvgpr_write_b32 acc16, v12                     // 
v_accvgpr_write_b32 acc32, v16                     // 
v_accvgpr_write_b32 acc48, v20                     // 
v_accvgpr_write_b32 acc64, v24                     // 
v_accvgpr_write_b32 acc80, v28                     // 
v_accvgpr_write_b32 acc96, v32                     // 
v_accvgpr_write_b32 acc112, v36                    // 
v_accvgpr_write_b32 acc1, v9                       // 
v_accvgpr_write_b32 acc17, v13                     // 
v_accvgpr_write_b32 acc33, v17                     // 
v_accvgpr_write_b32 acc49, v21                     // 
v_accvgpr_write_b32 acc65, v25                     // 
v_accvgpr_write_b32 acc81, v29                     // 
v_accvgpr_write_b32 acc97, v33                     // 
v_accvgpr_write_b32 acc113, v37                    // 
v_accvgpr_write_b32 acc2, v10                      // 
v_accvgpr_write_b32 acc18, v14                     // 
v_accvgpr_write_b32 acc34, v18                     // 
v_accvgpr_write_b32 acc50, v22                     // 
v_accvgpr_write_b32 acc66, v26                     // 
v_accvgpr_write_b32 acc82, v30                     // 
v_accvgpr_write_b32 acc98, v34                     // 
v_accvgpr_write_b32 acc114, v38                    // 
v_accvgpr_write_b32 acc3, v11                      // 
v_accvgpr_write_b32 acc19, v15                     // 
v_accvgpr_write_b32 acc35, v19                     // 
v_accvgpr_write_b32 acc51, v23                     // 
v_accvgpr_write_b32 acc67, v27                     // 
v_accvgpr_write_b32 acc83, v31                     // 
v_accvgpr_write_b32 acc99, v35                     // 
v_accvgpr_write_b32 acc115, v39                    // 
s_mov_b64 s[54:55], 0xFFFFFFFFFFFFFFFF             // to restore all threads active
s_or_saveexec_b64 vcc, s[54:55]                    // all threads active
s_nop 3                                            // wait for exec mask
v_accvgpr_read_b32 v8, acc5                        // 
v_accvgpr_read_b32 v12, acc21                      // 
v_accvgpr_read_b32 v16, acc37                      // 
v_accvgpr_read_b32 v20, acc53                      // 
v_accvgpr_read_b32 v24, acc69                      // 
v_accvgpr_read_b32 v28, acc85                      // 
v_accvgpr_read_b32 v32, acc101                     // 
v_accvgpr_read_b32 v36, acc117                     // 
v_accvgpr_read_b32 v9, acc6                        // 
v_accvgpr_read_b32 v13, acc22                      // 
v_accvgpr_read_b32 v17, acc38                      // 
v_accvgpr_read_b32 v21, acc54                      // 
v_accvgpr_read_b32 v25, acc70                      // 
v_accvgpr_read_b32 v29, acc86                      // 
v_accvgpr_read_b32 v33, acc102                     // 
v_accvgpr_read_b32 v37, acc118                     // 
v_accvgpr_read_b32 v10, acc7                       // 
v_accvgpr_read_b32 v14, acc23                      // 
v_accvgpr_read_b32 v18, acc39                      // 
v_accvgpr_read_b32 v22, acc55                      // 
v_accvgpr_read_b32 v26, acc71                      // 
v_accvgpr_read_b32 v30, acc87                      // 
v_accvgpr_read_b32 v34, acc103                     // 
v_accvgpr_read_b32 v38, acc119                     // 
v_accvgpr_read_b32 v11, acc4                       // 
v_accvgpr_read_b32 v15, acc20                      // 
v_accvgpr_read_b32 v19, acc36                      // 
v_accvgpr_read_b32 v23, acc52                      // 
v_accvgpr_read_b32 v27, acc68                      // 
v_accvgpr_read_b32 v31, acc84                      // 
v_accvgpr_read_b32 v35, acc100                     // 
v_accvgpr_read_b32 v39, acc116                     // 
s_nop 1                                            // v_accvgpr read vgpr after write vgpr: 2 wait states
ds_bpermute_b32 v8, v6, v8, offset:128             // permute edge values
ds_bpermute_b32 v12, v6, v12, offset:128           // permute edge values
ds_bpermute_b32 v16, v6, v16, offset:128           // permute edge values
	;; [unrolled: 1-line block ×7, first 2 shown]
ds_bpermute_b32 v9, v6, v9, offset:128             // permute edge values
ds_bpermute_b32 v13, v6, v13, offset:128           // permute edge values
ds_bpermute_b32 v17, v6, v17, offset:128           // permute edge values
	;; [unrolled: 1-line block ×15, first 2 shown]
s_waitcnt lgkmcnt(0)                               // wait for swizzle operation
s_mov_b32 s54, 1                                   // which thread need to shfit in this block
_v_cmpx_eq_u32 s[54:55], v7, s54                   // is thread in edge glvw region
s_nop 3                                            // wait for exec mask
v_accvgpr_write_b32 acc0, v8                       // 
v_accvgpr_write_b32 acc16, v12                     // 
v_accvgpr_write_b32 acc32, v16                     // 
v_accvgpr_write_b32 acc48, v20                     // 
v_accvgpr_write_b32 acc64, v24                     // 
v_accvgpr_write_b32 acc80, v28                     // 
v_accvgpr_write_b32 acc96, v32                     // 
v_accvgpr_write_b32 acc112, v36                    // 
v_accvgpr_write_b32 acc1, v9                       // 
v_accvgpr_write_b32 acc17, v13                     // 
v_accvgpr_write_b32 acc33, v17                     // 
v_accvgpr_write_b32 acc49, v21                     // 
v_accvgpr_write_b32 acc65, v25                     // 
v_accvgpr_write_b32 acc81, v29                     // 
v_accvgpr_write_b32 acc97, v33                     // 
v_accvgpr_write_b32 acc113, v37                    // 
v_accvgpr_write_b32 acc2, v10                      // 
v_accvgpr_write_b32 acc18, v14                     // 
v_accvgpr_write_b32 acc34, v18                     // 
v_accvgpr_write_b32 acc50, v22                     // 
v_accvgpr_write_b32 acc66, v26                     // 
v_accvgpr_write_b32 acc82, v30                     // 
v_accvgpr_write_b32 acc98, v34                     // 
v_accvgpr_write_b32 acc114, v38                    // 
v_accvgpr_write_b32 acc3, v11                      // 
v_accvgpr_write_b32 acc19, v15                     // 
v_accvgpr_write_b32 acc35, v19                     // 
v_accvgpr_write_b32 acc51, v23                     // 
v_accvgpr_write_b32 acc67, v27                     // 
v_accvgpr_write_b32 acc83, v31                     // 
v_accvgpr_write_b32 acc99, v35                     // 
v_accvgpr_write_b32 acc115, v39                    // 
s_mov_b64 s[54:55], 0xFFFFFFFFFFFFFFFF             // to restore all threads active
s_or_saveexec_b64 vcc, s[54:55]                    // all threads active
s_nop 3                                            // wait for exec mask
v_accvgpr_read_b32 v8, acc5                        // 
v_accvgpr_read_b32 v12, acc21                      // 
v_accvgpr_read_b32 v16, acc37                      // 
v_accvgpr_read_b32 v20, acc53                      // 
v_accvgpr_read_b32 v24, acc69                      // 
v_accvgpr_read_b32 v28, acc85                      // 
v_accvgpr_read_b32 v32, acc101                     // 
v_accvgpr_read_b32 v36, acc117                     // 
v_accvgpr_read_b32 v9, acc6                        // 
v_accvgpr_read_b32 v13, acc22                      // 
v_accvgpr_read_b32 v17, acc38                      // 
v_accvgpr_read_b32 v21, acc54                      // 
v_accvgpr_read_b32 v25, acc70                      // 
v_accvgpr_read_b32 v29, acc86                      // 
v_accvgpr_read_b32 v33, acc102                     // 
v_accvgpr_read_b32 v37, acc118                     // 
v_accvgpr_read_b32 v10, acc7                       // 
v_accvgpr_read_b32 v14, acc23                      // 
v_accvgpr_read_b32 v18, acc39                      // 
v_accvgpr_read_b32 v22, acc55                      // 
v_accvgpr_read_b32 v26, acc71                      // 
v_accvgpr_read_b32 v30, acc87                      // 
v_accvgpr_read_b32 v34, acc103                     // 
v_accvgpr_read_b32 v38, acc119                     // 
s_nop 1                                            // v_accvgpr read vgpr after write vgpr: 2 wait states
ds_bpermute_b32 v8, v6, v8, offset:128             // permute edge values
ds_bpermute_b32 v12, v6, v12, offset:128           // permute edge values
ds_bpermute_b32 v16, v6, v16, offset:128           // permute edge values
ds_bpermute_b32 v20, v6, v20, offset:128           // permute edge values
ds_bpermute_b32 v24, v6, v24, offset:128           // permute edge values
ds_bpermute_b32 v28, v6, v28, offset:128           // permute edge values
ds_bpermute_b32 v32, v6, v32, offset:128           // permute edge values
ds_bpermute_b32 v36, v6, v36, offset:128           // permute edge values
ds_bpermute_b32 v9, v6, v9, offset:128             // permute edge values
ds_bpermute_b32 v13, v6, v13, offset:128           // permute edge values
ds_bpermute_b32 v17, v6, v17, offset:128           // permute edge values
	;; [unrolled: 1-line block ×15, first 2 shown]
s_waitcnt lgkmcnt(0)                               // wait for swizzle operation
s_mov_b32 s54, 0                                   // which thread need to shfit in this block
_v_cmpx_eq_u32 s[54:55], v7, s54                   // is thread in edge glvw region
s_nop 3                                            // wait for exec mask
v_accvgpr_write_b32 acc4, v8                       // 
v_accvgpr_write_b32 acc20, v12                     // 
v_accvgpr_write_b32 acc36, v16                     // 
v_accvgpr_write_b32 acc52, v20                     // 
v_accvgpr_write_b32 acc68, v24                     // 
v_accvgpr_write_b32 acc84, v28                     // 
v_accvgpr_write_b32 acc100, v32                    // 
v_accvgpr_write_b32 acc116, v36                    // 
v_accvgpr_write_b32 acc5, v9                       // 
v_accvgpr_write_b32 acc21, v13                     // 
v_accvgpr_write_b32 acc37, v17                     // 
v_accvgpr_write_b32 acc53, v21                     // 
v_accvgpr_write_b32 acc69, v25                     // 
v_accvgpr_write_b32 acc85, v29                     // 
v_accvgpr_write_b32 acc101, v33                    // 
v_accvgpr_write_b32 acc117, v37                    // 
v_accvgpr_write_b32 acc6, v10                      // 
v_accvgpr_write_b32 acc22, v14                     // 
v_accvgpr_write_b32 acc38, v18                     // 
v_accvgpr_write_b32 acc54, v22                     // 
v_accvgpr_write_b32 acc70, v26                     // 
v_accvgpr_write_b32 acc86, v30                     // 
v_accvgpr_write_b32 acc102, v34                    // 
v_accvgpr_write_b32 acc118, v38                    // 
s_mov_b64 s[54:55], 0xFFFFFFFFFFFFFFFF             // to restore all threads active
s_or_saveexec_b64 vcc, s[54:55]                    // all threads active
s_nop 3                                            // wait for exec mask
s_branch label_0074                                // done

/******************************************/
/* shift d0 shift=11 glvwblk=1            */
/******************************************/
label_0061:
v_and_b32 v6, 63, v[vgprSerial]                    // permute register between threads
v_lshlrev_b32 v6, 0x2, v6                          // permute register between threads
v_lshrrev_b32 v0, 5, v[vgprSerial]                 // v0 = v[vgprSerial] / 32
v_and_b32 v7, 1, v0                                // v7 = v0 % 2
v_accvgpr_read_b32 v8, acc9                        // 
v_accvgpr_read_b32 v12, acc25                      // 
v_accvgpr_read_b32 v16, acc41                      // 
v_accvgpr_read_b32 v20, acc57                      // 
v_accvgpr_read_b32 v24, acc73                      // 
v_accvgpr_read_b32 v28, acc89                      // 
v_accvgpr_read_b32 v32, acc105                     // 
v_accvgpr_read_b32 v36, acc121                     // 
v_accvgpr_read_b32 v9, acc10                       // 
v_accvgpr_read_b32 v13, acc26                      // 
v_accvgpr_read_b32 v17, acc42                      // 
v_accvgpr_read_b32 v21, acc58                      // 
v_accvgpr_read_b32 v25, acc74                      // 
v_accvgpr_read_b32 v29, acc90                      // 
v_accvgpr_read_b32 v33, acc106                     // 
v_accvgpr_read_b32 v37, acc122                     // 
v_accvgpr_read_b32 v10, acc11                      // 
v_accvgpr_read_b32 v14, acc27                      // 
v_accvgpr_read_b32 v18, acc43                      // 
v_accvgpr_read_b32 v22, acc59                      // 
v_accvgpr_read_b32 v26, acc75                      // 
v_accvgpr_read_b32 v30, acc91                      // 
v_accvgpr_read_b32 v34, acc107                     // 
v_accvgpr_read_b32 v38, acc123                     // 
v_accvgpr_read_b32 v11, acc12                      // 
v_accvgpr_read_b32 v15, acc28                      // 
v_accvgpr_read_b32 v19, acc44                      // 
v_accvgpr_read_b32 v23, acc60                      // 
v_accvgpr_read_b32 v27, acc76                      // 
v_accvgpr_read_b32 v31, acc92                      // 
v_accvgpr_read_b32 v35, acc108                     // 
v_accvgpr_read_b32 v39, acc124                     // 
s_nop 1                                            // v_accvgpr read vgpr after write vgpr: 2 wait states
ds_bpermute_b32 v8, v6, v8, offset:128             // permute edge values
ds_bpermute_b32 v12, v6, v12, offset:128           // permute edge values
ds_bpermute_b32 v16, v6, v16, offset:128           // permute edge values
	;; [unrolled: 1-line block ×7, first 2 shown]
ds_bpermute_b32 v9, v6, v9, offset:128             // permute edge values
ds_bpermute_b32 v13, v6, v13, offset:128           // permute edge values
ds_bpermute_b32 v17, v6, v17, offset:128           // permute edge values
	;; [unrolled: 1-line block ×15, first 2 shown]
s_waitcnt lgkmcnt(0)                               // wait for swizzle operation
s_mov_b32 s54, 0                                   // which thread need to shfit in this block
_v_cmpx_eq_u32 s[54:55], v7, s54                   // is thread in edge glvw region
s_nop 3                                            // wait for exec mask
v_accvgpr_write_b32 acc8, v8                       // 
v_accvgpr_write_b32 acc24, v12                     // 
v_accvgpr_write_b32 acc40, v16                     // 
v_accvgpr_write_b32 acc56, v20                     // 
v_accvgpr_write_b32 acc72, v24                     // 
v_accvgpr_write_b32 acc88, v28                     // 
v_accvgpr_write_b32 acc104, v32                    // 
v_accvgpr_write_b32 acc120, v36                    // 
v_accvgpr_write_b32 acc9, v9                       // 
v_accvgpr_write_b32 acc25, v13                     // 
v_accvgpr_write_b32 acc41, v17                     // 
v_accvgpr_write_b32 acc57, v21                     // 
v_accvgpr_write_b32 acc73, v25                     // 
v_accvgpr_write_b32 acc89, v29                     // 
v_accvgpr_write_b32 acc105, v33                    // 
v_accvgpr_write_b32 acc121, v37                    // 
v_accvgpr_write_b32 acc10, v10                     // 
v_accvgpr_write_b32 acc26, v14                     // 
v_accvgpr_write_b32 acc42, v18                     // 
v_accvgpr_write_b32 acc58, v22                     // 
v_accvgpr_write_b32 acc74, v26                     // 
v_accvgpr_write_b32 acc90, v30                     // 
v_accvgpr_write_b32 acc106, v34                    // 
v_accvgpr_write_b32 acc122, v38                    // 
v_accvgpr_write_b32 acc11, v11                     // 
v_accvgpr_write_b32 acc27, v15                     // 
v_accvgpr_write_b32 acc43, v19                     // 
v_accvgpr_write_b32 acc59, v23                     // 
v_accvgpr_write_b32 acc75, v27                     // 
v_accvgpr_write_b32 acc91, v31                     // 
v_accvgpr_write_b32 acc107, v35                    // 
v_accvgpr_write_b32 acc123, v39                    // 
s_mov_b64 s[54:55], 0xFFFFFFFFFFFFFFFF             // to restore all threads active
s_or_saveexec_b64 vcc, s[54:55]                    // all threads active
s_nop 3                                            // wait for exec mask
v_accvgpr_read_b32 v8, acc13                       // 
v_accvgpr_read_b32 v12, acc29                      // 
v_accvgpr_read_b32 v16, acc45                      // 
v_accvgpr_read_b32 v20, acc61                      // 
v_accvgpr_read_b32 v24, acc77                      // 
v_accvgpr_read_b32 v28, acc93                      // 
v_accvgpr_read_b32 v32, acc109                     // 
v_accvgpr_read_b32 v36, acc125                     // 
v_accvgpr_read_b32 v9, acc14                       // 
v_accvgpr_read_b32 v13, acc30                      // 
v_accvgpr_read_b32 v17, acc46                      // 
v_accvgpr_read_b32 v21, acc62                      // 
v_accvgpr_read_b32 v25, acc78                      // 
v_accvgpr_read_b32 v29, acc94                      // 
v_accvgpr_read_b32 v33, acc110                     // 
v_accvgpr_read_b32 v37, acc126                     // 
v_accvgpr_read_b32 v10, acc15                      // 
v_accvgpr_read_b32 v14, acc31                      // 
v_accvgpr_read_b32 v18, acc47                      // 
v_accvgpr_read_b32 v22, acc63                      // 
v_accvgpr_read_b32 v26, acc79                      // 
v_accvgpr_read_b32 v30, acc95                      // 
v_accvgpr_read_b32 v34, acc111                     // 
v_accvgpr_read_b32 v38, acc127                     // 
v_accvgpr_read_b32 v11, acc12                      // 
v_accvgpr_read_b32 v15, acc28                      // 
v_accvgpr_read_b32 v19, acc44                      // 
v_accvgpr_read_b32 v23, acc60                      // 
v_accvgpr_read_b32 v27, acc76                      // 
v_accvgpr_read_b32 v31, acc92                      // 
v_accvgpr_read_b32 v35, acc108                     // 
v_accvgpr_read_b32 v39, acc124                     // 
s_nop 1                                            // v_accvgpr read vgpr after write vgpr: 2 wait states
ds_bpermute_b32 v8, v6, v8, offset:128             // permute edge values
ds_bpermute_b32 v12, v6, v12, offset:128           // permute edge values
ds_bpermute_b32 v16, v6, v16, offset:128           // permute edge values
	;; [unrolled: 1-line block ×7, first 2 shown]
ds_bpermute_b32 v9, v6, v9, offset:128             // permute edge values
ds_bpermute_b32 v13, v6, v13, offset:128           // permute edge values
ds_bpermute_b32 v17, v6, v17, offset:128           // permute edge values
	;; [unrolled: 1-line block ×15, first 2 shown]
s_waitcnt lgkmcnt(0)                               // wait for swizzle operation
s_mov_b32 s54, 1                                   // which thread need to shfit in this block
_v_cmpx_eq_u32 s[54:55], v7, s54                   // is thread in edge glvw region
s_nop 3                                            // wait for exec mask
v_accvgpr_write_b32 acc8, v8                       // 
v_accvgpr_write_b32 acc24, v12                     // 
v_accvgpr_write_b32 acc40, v16                     // 
v_accvgpr_write_b32 acc56, v20                     // 
v_accvgpr_write_b32 acc72, v24                     // 
v_accvgpr_write_b32 acc88, v28                     // 
v_accvgpr_write_b32 acc104, v32                    // 
v_accvgpr_write_b32 acc120, v36                    // 
v_accvgpr_write_b32 acc9, v9                       // 
v_accvgpr_write_b32 acc25, v13                     // 
v_accvgpr_write_b32 acc41, v17                     // 
v_accvgpr_write_b32 acc57, v21                     // 
v_accvgpr_write_b32 acc73, v25                     // 
v_accvgpr_write_b32 acc89, v29                     // 
v_accvgpr_write_b32 acc105, v33                    // 
v_accvgpr_write_b32 acc121, v37                    // 
v_accvgpr_write_b32 acc10, v10                     // 
v_accvgpr_write_b32 acc26, v14                     // 
v_accvgpr_write_b32 acc42, v18                     // 
v_accvgpr_write_b32 acc58, v22                     // 
v_accvgpr_write_b32 acc74, v26                     // 
v_accvgpr_write_b32 acc90, v30                     // 
v_accvgpr_write_b32 acc106, v34                    // 
v_accvgpr_write_b32 acc122, v38                    // 
v_accvgpr_write_b32 acc11, v11                     // 
v_accvgpr_write_b32 acc27, v15                     // 
v_accvgpr_write_b32 acc43, v19                     // 
v_accvgpr_write_b32 acc59, v23                     // 
v_accvgpr_write_b32 acc75, v27                     // 
v_accvgpr_write_b32 acc91, v31                     // 
v_accvgpr_write_b32 acc107, v35                    // 
v_accvgpr_write_b32 acc123, v39                    // 
s_mov_b64 s[54:55], 0xFFFFFFFFFFFFFFFF             // to restore all threads active
s_or_saveexec_b64 vcc, s[54:55]                    // all threads active
s_nop 3                                            // wait for exec mask
v_accvgpr_read_b32 v8, acc13                       // 
v_accvgpr_read_b32 v12, acc29                      // 
v_accvgpr_read_b32 v16, acc45                      // 
v_accvgpr_read_b32 v20, acc61                      // 
v_accvgpr_read_b32 v24, acc77                      // 
v_accvgpr_read_b32 v28, acc93                      // 
v_accvgpr_read_b32 v32, acc109                     // 
v_accvgpr_read_b32 v36, acc125                     // 
v_accvgpr_read_b32 v9, acc14                       // 
v_accvgpr_read_b32 v13, acc30                      // 
v_accvgpr_read_b32 v17, acc46                      // 
v_accvgpr_read_b32 v21, acc62                      // 
v_accvgpr_read_b32 v25, acc78                      // 
v_accvgpr_read_b32 v29, acc94                      // 
v_accvgpr_read_b32 v33, acc110                     // 
v_accvgpr_read_b32 v37, acc126                     // 
v_accvgpr_read_b32 v10, acc15                      // 
v_accvgpr_read_b32 v14, acc31                      // 
v_accvgpr_read_b32 v18, acc47                      // 
v_accvgpr_read_b32 v22, acc63                      // 
v_accvgpr_read_b32 v26, acc79                      // 
v_accvgpr_read_b32 v30, acc95                      // 
v_accvgpr_read_b32 v34, acc111                     // 
v_accvgpr_read_b32 v38, acc127                     // 
s_nop 1                                            // v_accvgpr read vgpr after write vgpr: 2 wait states
ds_bpermute_b32 v8, v6, v8, offset:128             // permute edge values
ds_bpermute_b32 v12, v6, v12, offset:128           // permute edge values
ds_bpermute_b32 v16, v6, v16, offset:128           // permute edge values
ds_bpermute_b32 v20, v6, v20, offset:128           // permute edge values
ds_bpermute_b32 v24, v6, v24, offset:128           // permute edge values
ds_bpermute_b32 v28, v6, v28, offset:128           // permute edge values
ds_bpermute_b32 v32, v6, v32, offset:128           // permute edge values
ds_bpermute_b32 v36, v6, v36, offset:128           // permute edge values
ds_bpermute_b32 v9, v6, v9, offset:128             // permute edge values
ds_bpermute_b32 v13, v6, v13, offset:128           // permute edge values
ds_bpermute_b32 v17, v6, v17, offset:128           // permute edge values
	;; [unrolled: 1-line block ×15, first 2 shown]
s_waitcnt lgkmcnt(0)                               // wait for swizzle operation
s_mov_b32 s54, 0                                   // which thread need to shfit in this block
_v_cmpx_eq_u32 s[54:55], v7, s54                   // is thread in edge glvw region
s_nop 3                                            // wait for exec mask
v_accvgpr_write_b32 acc12, v8                      // 
v_accvgpr_write_b32 acc28, v12                     // 
v_accvgpr_write_b32 acc44, v16                     // 
v_accvgpr_write_b32 acc60, v20                     // 
v_accvgpr_write_b32 acc76, v24                     // 
v_accvgpr_write_b32 acc92, v28                     // 
v_accvgpr_write_b32 acc108, v32                    // 
v_accvgpr_write_b32 acc124, v36                    // 
v_accvgpr_write_b32 acc13, v9                      // 
v_accvgpr_write_b32 acc29, v13                     // 
v_accvgpr_write_b32 acc45, v17                     // 
v_accvgpr_write_b32 acc61, v21                     // 
v_accvgpr_write_b32 acc77, v25                     // 
v_accvgpr_write_b32 acc93, v29                     // 
v_accvgpr_write_b32 acc109, v33                    // 
v_accvgpr_write_b32 acc125, v37                    // 
v_accvgpr_write_b32 acc14, v10                     // 
v_accvgpr_write_b32 acc30, v14                     // 
v_accvgpr_write_b32 acc46, v18                     // 
v_accvgpr_write_b32 acc62, v22                     // 
v_accvgpr_write_b32 acc78, v26                     // 
v_accvgpr_write_b32 acc94, v30                     // 
v_accvgpr_write_b32 acc110, v34                    // 
v_accvgpr_write_b32 acc126, v38                    // 
s_mov_b64 s[54:55], 0xFFFFFFFFFFFFFFFF             // to restore all threads active
s_or_saveexec_b64 vcc, s[54:55]                    // all threads active
s_nop 3                                            // wait for exec mask
s_branch label_0074                                // done

/******************************************/
/* shift d0 shift=12 glvwblk=0            */
/******************************************/
label_0063:
v_and_b32 v6, 63, v[vgprSerial]                    // permute register between threads
v_lshlrev_b32 v6, 0x2, v6                          // permute register between threads
v_lshrrev_b32 v0, 5, v[vgprSerial]                 // v0 = v[vgprSerial] / 32
v_and_b32 v7, 1, v0                                // v7 = v0 % 2
v_accvgpr_read_b32 v8, acc0                        // 
v_accvgpr_read_b32 v12, acc16                      // 
v_accvgpr_read_b32 v16, acc32                      // 
v_accvgpr_read_b32 v20, acc48                      // 
v_accvgpr_read_b32 v24, acc64                      // 
v_accvgpr_read_b32 v28, acc80                      // 
v_accvgpr_read_b32 v32, acc96                      // 
v_accvgpr_read_b32 v36, acc112                     // 
v_accvgpr_read_b32 v9, acc1                        // 
v_accvgpr_read_b32 v13, acc17                      // 
v_accvgpr_read_b32 v17, acc33                      // 
v_accvgpr_read_b32 v21, acc49                      // 
v_accvgpr_read_b32 v25, acc65                      // 
v_accvgpr_read_b32 v29, acc81                      // 
v_accvgpr_read_b32 v33, acc97                      // 
v_accvgpr_read_b32 v37, acc113                     // 
v_accvgpr_read_b32 v10, acc2                       // 
v_accvgpr_read_b32 v14, acc18                      // 
v_accvgpr_read_b32 v18, acc34                      // 
v_accvgpr_read_b32 v22, acc50                      // 
v_accvgpr_read_b32 v26, acc66                      // 
v_accvgpr_read_b32 v30, acc82                      // 
v_accvgpr_read_b32 v34, acc98                      // 
v_accvgpr_read_b32 v38, acc114                     // 
v_accvgpr_read_b32 v11, acc3                       // 
v_accvgpr_read_b32 v15, acc19                      // 
v_accvgpr_read_b32 v19, acc35                      // 
v_accvgpr_read_b32 v23, acc51                      // 
v_accvgpr_read_b32 v27, acc67                      // 
v_accvgpr_read_b32 v31, acc83                      // 
v_accvgpr_read_b32 v35, acc99                      // 
v_accvgpr_read_b32 v39, acc115                     // 
s_nop 1                                            // v_accvgpr read vgpr after write vgpr: 2 wait states
ds_bpermute_b32 v8, v6, v8, offset:128             // permute edge values
ds_bpermute_b32 v12, v6, v12, offset:128           // permute edge values
ds_bpermute_b32 v16, v6, v16, offset:128           // permute edge values
	;; [unrolled: 1-line block ×7, first 2 shown]
ds_bpermute_b32 v9, v6, v9, offset:128             // permute edge values
ds_bpermute_b32 v13, v6, v13, offset:128           // permute edge values
ds_bpermute_b32 v17, v6, v17, offset:128           // permute edge values
	;; [unrolled: 1-line block ×23, first 2 shown]
s_waitcnt lgkmcnt(0)                               // wait for swizzle operation
s_mov_b32 s54, 0                                   // which thread need to shfit in this block
_v_cmpx_eq_u32 s[54:55], v7, s54                   // is thread in edge glvw region
s_nop 3                                            // wait for exec mask
v_accvgpr_write_b32 acc0, v8                       // 
v_accvgpr_write_b32 acc16, v12                     // 
v_accvgpr_write_b32 acc32, v16                     // 
v_accvgpr_write_b32 acc48, v20                     // 
v_accvgpr_write_b32 acc64, v24                     // 
v_accvgpr_write_b32 acc80, v28                     // 
v_accvgpr_write_b32 acc96, v32                     // 
v_accvgpr_write_b32 acc112, v36                    // 
v_accvgpr_write_b32 acc1, v9                       // 
v_accvgpr_write_b32 acc17, v13                     // 
v_accvgpr_write_b32 acc33, v17                     // 
v_accvgpr_write_b32 acc49, v21                     // 
v_accvgpr_write_b32 acc65, v25                     // 
v_accvgpr_write_b32 acc81, v29                     // 
v_accvgpr_write_b32 acc97, v33                     // 
v_accvgpr_write_b32 acc113, v37                    // 
v_accvgpr_write_b32 acc2, v10                      // 
v_accvgpr_write_b32 acc18, v14                     // 
v_accvgpr_write_b32 acc34, v18                     // 
v_accvgpr_write_b32 acc50, v22                     // 
v_accvgpr_write_b32 acc66, v26                     // 
v_accvgpr_write_b32 acc82, v30                     // 
v_accvgpr_write_b32 acc98, v34                     // 
v_accvgpr_write_b32 acc114, v38                    // 
v_accvgpr_write_b32 acc3, v11                      // 
v_accvgpr_write_b32 acc19, v15                     // 
v_accvgpr_write_b32 acc35, v19                     // 
v_accvgpr_write_b32 acc51, v23                     // 
v_accvgpr_write_b32 acc67, v27                     // 
v_accvgpr_write_b32 acc83, v31                     // 
v_accvgpr_write_b32 acc99, v35                     // 
v_accvgpr_write_b32 acc115, v39                    // 
s_mov_b64 s[54:55], 0xFFFFFFFFFFFFFFFF             // to restore all threads active
s_or_saveexec_b64 vcc, s[54:55]                    // all threads active
s_nop 3                                            // wait for exec mask
v_accvgpr_read_b32 v8, acc4                        // 
v_accvgpr_read_b32 v12, acc20                      // 
v_accvgpr_read_b32 v16, acc36                      // 
v_accvgpr_read_b32 v20, acc52                      // 
v_accvgpr_read_b32 v24, acc68                      // 
v_accvgpr_read_b32 v28, acc84                      // 
v_accvgpr_read_b32 v32, acc100                     // 
v_accvgpr_read_b32 v36, acc116                     // 
v_accvgpr_read_b32 v9, acc5                        // 
v_accvgpr_read_b32 v13, acc21                      // 
v_accvgpr_read_b32 v17, acc37                      // 
v_accvgpr_read_b32 v21, acc53                      // 
v_accvgpr_read_b32 v25, acc69                      // 
v_accvgpr_read_b32 v29, acc85                      // 
v_accvgpr_read_b32 v33, acc101                     // 
v_accvgpr_read_b32 v37, acc117                     // 
v_accvgpr_read_b32 v10, acc6                       // 
v_accvgpr_read_b32 v14, acc22                      // 
v_accvgpr_read_b32 v18, acc38                      // 
v_accvgpr_read_b32 v22, acc54                      // 
v_accvgpr_read_b32 v26, acc70                      // 
v_accvgpr_read_b32 v30, acc86                      // 
v_accvgpr_read_b32 v34, acc102                     // 
v_accvgpr_read_b32 v38, acc118                     // 
v_accvgpr_read_b32 v11, acc7                       // 
v_accvgpr_read_b32 v15, acc23                      // 
v_accvgpr_read_b32 v19, acc39                      // 
v_accvgpr_read_b32 v23, acc55                      // 
v_accvgpr_read_b32 v27, acc71                      // 
v_accvgpr_read_b32 v31, acc87                      // 
v_accvgpr_read_b32 v35, acc103                     // 
v_accvgpr_read_b32 v39, acc119                     // 
s_nop 1                                            // v_accvgpr read vgpr after write vgpr: 2 wait states
ds_bpermute_b32 v8, v6, v8, offset:128             // permute edge values
ds_bpermute_b32 v12, v6, v12, offset:128           // permute edge values
ds_bpermute_b32 v16, v6, v16, offset:128           // permute edge values
	;; [unrolled: 1-line block ×7, first 2 shown]
ds_bpermute_b32 v9, v6, v9, offset:128             // permute edge values
ds_bpermute_b32 v13, v6, v13, offset:128           // permute edge values
ds_bpermute_b32 v17, v6, v17, offset:128           // permute edge values
	;; [unrolled: 1-line block ×23, first 2 shown]
s_waitcnt lgkmcnt(0)                               // wait for swizzle operation
s_mov_b32 s54, 1                                   // which thread need to shfit in this block
_v_cmpx_eq_u32 s[54:55], v7, s54                   // is thread in edge glvw region
s_nop 3                                            // wait for exec mask
v_accvgpr_write_b32 acc0, v8                       // 
v_accvgpr_write_b32 acc16, v12                     // 
v_accvgpr_write_b32 acc32, v16                     // 
v_accvgpr_write_b32 acc48, v20                     // 
v_accvgpr_write_b32 acc64, v24                     // 
v_accvgpr_write_b32 acc80, v28                     // 
v_accvgpr_write_b32 acc96, v32                     // 
v_accvgpr_write_b32 acc112, v36                    // 
v_accvgpr_write_b32 acc1, v9                       // 
v_accvgpr_write_b32 acc17, v13                     // 
v_accvgpr_write_b32 acc33, v17                     // 
v_accvgpr_write_b32 acc49, v21                     // 
v_accvgpr_write_b32 acc65, v25                     // 
v_accvgpr_write_b32 acc81, v29                     // 
v_accvgpr_write_b32 acc97, v33                     // 
v_accvgpr_write_b32 acc113, v37                    // 
v_accvgpr_write_b32 acc2, v10                      // 
v_accvgpr_write_b32 acc18, v14                     // 
v_accvgpr_write_b32 acc34, v18                     // 
v_accvgpr_write_b32 acc50, v22                     // 
v_accvgpr_write_b32 acc66, v26                     // 
v_accvgpr_write_b32 acc82, v30                     // 
v_accvgpr_write_b32 acc98, v34                     // 
v_accvgpr_write_b32 acc114, v38                    // 
v_accvgpr_write_b32 acc3, v11                      // 
v_accvgpr_write_b32 acc19, v15                     // 
v_accvgpr_write_b32 acc35, v19                     // 
v_accvgpr_write_b32 acc51, v23                     // 
v_accvgpr_write_b32 acc67, v27                     // 
v_accvgpr_write_b32 acc83, v31                     // 
v_accvgpr_write_b32 acc99, v35                     // 
v_accvgpr_write_b32 acc115, v39                    // 
s_mov_b64 s[54:55], 0xFFFFFFFFFFFFFFFF             // to restore all threads active
s_or_saveexec_b64 vcc, s[54:55]                    // all threads active
s_nop 3                                            // wait for exec mask
v_accvgpr_read_b32 v8, acc4                        // 
v_accvgpr_read_b32 v12, acc20                      // 
v_accvgpr_read_b32 v16, acc36                      // 
v_accvgpr_read_b32 v20, acc52                      // 
v_accvgpr_read_b32 v24, acc68                      // 
v_accvgpr_read_b32 v28, acc84                      // 
v_accvgpr_read_b32 v32, acc100                     // 
v_accvgpr_read_b32 v36, acc116                     // 
v_accvgpr_read_b32 v9, acc5                        // 
v_accvgpr_read_b32 v13, acc21                      // 
v_accvgpr_read_b32 v17, acc37                      // 
v_accvgpr_read_b32 v21, acc53                      // 
v_accvgpr_read_b32 v25, acc69                      // 
v_accvgpr_read_b32 v29, acc85                      // 
v_accvgpr_read_b32 v33, acc101                     // 
v_accvgpr_read_b32 v37, acc117                     // 
v_accvgpr_read_b32 v10, acc6                       // 
v_accvgpr_read_b32 v14, acc22                      // 
v_accvgpr_read_b32 v18, acc38                      // 
v_accvgpr_read_b32 v22, acc54                      // 
v_accvgpr_read_b32 v26, acc70                      // 
v_accvgpr_read_b32 v30, acc86                      // 
v_accvgpr_read_b32 v34, acc102                     // 
v_accvgpr_read_b32 v38, acc118                     // 
v_accvgpr_read_b32 v11, acc7                       // 
v_accvgpr_read_b32 v15, acc23                      // 
v_accvgpr_read_b32 v19, acc39                      // 
v_accvgpr_read_b32 v23, acc55                      // 
v_accvgpr_read_b32 v27, acc71                      // 
v_accvgpr_read_b32 v31, acc87                      // 
v_accvgpr_read_b32 v35, acc103                     // 
v_accvgpr_read_b32 v39, acc119                     // 
s_nop 1                                            // v_accvgpr read vgpr after write vgpr: 2 wait states
ds_bpermute_b32 v8, v6, v8, offset:128             // permute edge values
ds_bpermute_b32 v12, v6, v12, offset:128           // permute edge values
ds_bpermute_b32 v16, v6, v16, offset:128           // permute edge values
	;; [unrolled: 1-line block ×7, first 2 shown]
ds_bpermute_b32 v9, v6, v9, offset:128             // permute edge values
ds_bpermute_b32 v13, v6, v13, offset:128           // permute edge values
ds_bpermute_b32 v17, v6, v17, offset:128           // permute edge values
ds_bpermute_b32 v21, v6, v21, offset:128           // permute edge values
ds_bpermute_b32 v25, v6, v25, offset:128           // permute edge values
ds_bpermute_b32 v29, v6, v29, offset:128           // permute edge values
ds_bpermute_b32 v33, v6, v33, offset:128           // permute edge values
ds_bpermute_b32 v37, v6, v37, offset:128           // permute edge values
ds_bpermute_b32 v10, v6, v10, offset:128           // permute edge values
ds_bpermute_b32 v14, v6, v14, offset:128           // permute edge values
ds_bpermute_b32 v18, v6, v18, offset:128           // permute edge values
ds_bpermute_b32 v22, v6, v22, offset:128           // permute edge values
ds_bpermute_b32 v26, v6, v26, offset:128           // permute edge values
ds_bpermute_b32 v30, v6, v30, offset:128           // permute edge values
ds_bpermute_b32 v34, v6, v34, offset:128           // permute edge values
ds_bpermute_b32 v38, v6, v38, offset:128           // permute edge values
ds_bpermute_b32 v11, v6, v11, offset:128           // permute edge values
ds_bpermute_b32 v15, v6, v15, offset:128           // permute edge values
ds_bpermute_b32 v19, v6, v19, offset:128           // permute edge values
ds_bpermute_b32 v23, v6, v23, offset:128           // permute edge values
ds_bpermute_b32 v27, v6, v27, offset:128           // permute edge values
ds_bpermute_b32 v31, v6, v31, offset:128           // permute edge values
ds_bpermute_b32 v35, v6, v35, offset:128           // permute edge values
ds_bpermute_b32 v39, v6, v39, offset:128           // permute edge values
s_waitcnt lgkmcnt(0)                               // wait for swizzle operation
s_mov_b32 s54, 0                                   // which thread need to shfit in this block
_v_cmpx_eq_u32 s[54:55], v7, s54                   // is thread in edge glvw region
s_nop 3                                            // wait for exec mask
v_accvgpr_write_b32 acc4, v8                       // 
v_accvgpr_write_b32 acc20, v12                     // 
v_accvgpr_write_b32 acc36, v16                     // 
v_accvgpr_write_b32 acc52, v20                     // 
v_accvgpr_write_b32 acc68, v24                     // 
v_accvgpr_write_b32 acc84, v28                     // 
v_accvgpr_write_b32 acc100, v32                    // 
v_accvgpr_write_b32 acc116, v36                    // 
v_accvgpr_write_b32 acc5, v9                       // 
v_accvgpr_write_b32 acc21, v13                     // 
v_accvgpr_write_b32 acc37, v17                     // 
v_accvgpr_write_b32 acc53, v21                     // 
v_accvgpr_write_b32 acc69, v25                     // 
v_accvgpr_write_b32 acc85, v29                     // 
v_accvgpr_write_b32 acc101, v33                    // 
v_accvgpr_write_b32 acc117, v37                    // 
v_accvgpr_write_b32 acc6, v10                      // 
v_accvgpr_write_b32 acc22, v14                     // 
v_accvgpr_write_b32 acc38, v18                     // 
v_accvgpr_write_b32 acc54, v22                     // 
v_accvgpr_write_b32 acc70, v26                     // 
v_accvgpr_write_b32 acc86, v30                     // 
v_accvgpr_write_b32 acc102, v34                    // 
v_accvgpr_write_b32 acc118, v38                    // 
v_accvgpr_write_b32 acc7, v11                      // 
v_accvgpr_write_b32 acc23, v15                     // 
v_accvgpr_write_b32 acc39, v19                     // 
v_accvgpr_write_b32 acc55, v23                     // 
v_accvgpr_write_b32 acc71, v27                     // 
v_accvgpr_write_b32 acc87, v31                     // 
v_accvgpr_write_b32 acc103, v35                    // 
v_accvgpr_write_b32 acc119, v39                    // 
s_mov_b64 s[54:55], 0xFFFFFFFFFFFFFFFF             // to restore all threads active
s_or_saveexec_b64 vcc, s[54:55]                    // all threads active
s_nop 3                                            // wait for exec mask
s_branch label_0074                                // done

/******************************************/
/* shift d0 shift=12 glvwblk=1            */
/******************************************/
label_0064:
v_and_b32 v6, 63, v[vgprSerial]                    // permute register between threads
v_lshlrev_b32 v6, 0x2, v6                          // permute register between threads
v_lshrrev_b32 v0, 5, v[vgprSerial]                 // v0 = v[vgprSerial] / 32
v_and_b32 v7, 1, v0                                // v7 = v0 % 2
v_accvgpr_read_b32 v8, acc8                        // 
v_accvgpr_read_b32 v12, acc24                      // 
v_accvgpr_read_b32 v16, acc40                      // 
v_accvgpr_read_b32 v20, acc56                      // 
v_accvgpr_read_b32 v24, acc72                      // 
v_accvgpr_read_b32 v28, acc88                      // 
v_accvgpr_read_b32 v32, acc104                     // 
v_accvgpr_read_b32 v36, acc120                     // 
v_accvgpr_read_b32 v9, acc9                        // 
v_accvgpr_read_b32 v13, acc25                      // 
v_accvgpr_read_b32 v17, acc41                      // 
v_accvgpr_read_b32 v21, acc57                      // 
v_accvgpr_read_b32 v25, acc73                      // 
v_accvgpr_read_b32 v29, acc89                      // 
v_accvgpr_read_b32 v33, acc105                     // 
v_accvgpr_read_b32 v37, acc121                     // 
v_accvgpr_read_b32 v10, acc10                      // 
v_accvgpr_read_b32 v14, acc26                      // 
v_accvgpr_read_b32 v18, acc42                      // 
v_accvgpr_read_b32 v22, acc58                      // 
v_accvgpr_read_b32 v26, acc74                      // 
v_accvgpr_read_b32 v30, acc90                      // 
v_accvgpr_read_b32 v34, acc106                     // 
v_accvgpr_read_b32 v38, acc122                     // 
v_accvgpr_read_b32 v11, acc11                      // 
v_accvgpr_read_b32 v15, acc27                      // 
v_accvgpr_read_b32 v19, acc43                      // 
v_accvgpr_read_b32 v23, acc59                      // 
v_accvgpr_read_b32 v27, acc75                      // 
v_accvgpr_read_b32 v31, acc91                      // 
v_accvgpr_read_b32 v35, acc107                     // 
v_accvgpr_read_b32 v39, acc123                     // 
s_nop 1                                            // v_accvgpr read vgpr after write vgpr: 2 wait states
ds_bpermute_b32 v8, v6, v8, offset:128             // permute edge values
ds_bpermute_b32 v12, v6, v12, offset:128           // permute edge values
ds_bpermute_b32 v16, v6, v16, offset:128           // permute edge values
	;; [unrolled: 1-line block ×7, first 2 shown]
ds_bpermute_b32 v9, v6, v9, offset:128             // permute edge values
ds_bpermute_b32 v13, v6, v13, offset:128           // permute edge values
ds_bpermute_b32 v17, v6, v17, offset:128           // permute edge values
	;; [unrolled: 1-line block ×23, first 2 shown]
s_waitcnt lgkmcnt(0)                               // wait for swizzle operation
s_mov_b32 s54, 0                                   // which thread need to shfit in this block
_v_cmpx_eq_u32 s[54:55], v7, s54                   // is thread in edge glvw region
s_nop 3                                            // wait for exec mask
v_accvgpr_write_b32 acc8, v8                       // 
v_accvgpr_write_b32 acc24, v12                     // 
v_accvgpr_write_b32 acc40, v16                     // 
v_accvgpr_write_b32 acc56, v20                     // 
v_accvgpr_write_b32 acc72, v24                     // 
v_accvgpr_write_b32 acc88, v28                     // 
v_accvgpr_write_b32 acc104, v32                    // 
v_accvgpr_write_b32 acc120, v36                    // 
v_accvgpr_write_b32 acc9, v9                       // 
v_accvgpr_write_b32 acc25, v13                     // 
v_accvgpr_write_b32 acc41, v17                     // 
v_accvgpr_write_b32 acc57, v21                     // 
v_accvgpr_write_b32 acc73, v25                     // 
v_accvgpr_write_b32 acc89, v29                     // 
v_accvgpr_write_b32 acc105, v33                    // 
v_accvgpr_write_b32 acc121, v37                    // 
v_accvgpr_write_b32 acc10, v10                     // 
v_accvgpr_write_b32 acc26, v14                     // 
v_accvgpr_write_b32 acc42, v18                     // 
v_accvgpr_write_b32 acc58, v22                     // 
v_accvgpr_write_b32 acc74, v26                     // 
v_accvgpr_write_b32 acc90, v30                     // 
v_accvgpr_write_b32 acc106, v34                    // 
v_accvgpr_write_b32 acc122, v38                    // 
v_accvgpr_write_b32 acc11, v11                     // 
v_accvgpr_write_b32 acc27, v15                     // 
v_accvgpr_write_b32 acc43, v19                     // 
v_accvgpr_write_b32 acc59, v23                     // 
v_accvgpr_write_b32 acc75, v27                     // 
v_accvgpr_write_b32 acc91, v31                     // 
v_accvgpr_write_b32 acc107, v35                    // 
v_accvgpr_write_b32 acc123, v39                    // 
s_mov_b64 s[54:55], 0xFFFFFFFFFFFFFFFF             // to restore all threads active
s_or_saveexec_b64 vcc, s[54:55]                    // all threads active
s_nop 3                                            // wait for exec mask
v_accvgpr_read_b32 v8, acc12                       // 
v_accvgpr_read_b32 v12, acc28                      // 
v_accvgpr_read_b32 v16, acc44                      // 
v_accvgpr_read_b32 v20, acc60                      // 
v_accvgpr_read_b32 v24, acc76                      // 
v_accvgpr_read_b32 v28, acc92                      // 
v_accvgpr_read_b32 v32, acc108                     // 
v_accvgpr_read_b32 v36, acc124                     // 
v_accvgpr_read_b32 v9, acc13                       // 
v_accvgpr_read_b32 v13, acc29                      // 
v_accvgpr_read_b32 v17, acc45                      // 
v_accvgpr_read_b32 v21, acc61                      // 
v_accvgpr_read_b32 v25, acc77                      // 
v_accvgpr_read_b32 v29, acc93                      // 
v_accvgpr_read_b32 v33, acc109                     // 
v_accvgpr_read_b32 v37, acc125                     // 
v_accvgpr_read_b32 v10, acc14                      // 
v_accvgpr_read_b32 v14, acc30                      // 
v_accvgpr_read_b32 v18, acc46                      // 
v_accvgpr_read_b32 v22, acc62                      // 
v_accvgpr_read_b32 v26, acc78                      // 
v_accvgpr_read_b32 v30, acc94                      // 
v_accvgpr_read_b32 v34, acc110                     // 
v_accvgpr_read_b32 v38, acc126                     // 
v_accvgpr_read_b32 v11, acc15                      // 
v_accvgpr_read_b32 v15, acc31                      // 
v_accvgpr_read_b32 v19, acc47                      // 
v_accvgpr_read_b32 v23, acc63                      // 
v_accvgpr_read_b32 v27, acc79                      // 
v_accvgpr_read_b32 v31, acc95                      // 
v_accvgpr_read_b32 v35, acc111                     // 
v_accvgpr_read_b32 v39, acc127                     // 
s_nop 1                                            // v_accvgpr read vgpr after write vgpr: 2 wait states
ds_bpermute_b32 v8, v6, v8, offset:128             // permute edge values
ds_bpermute_b32 v12, v6, v12, offset:128           // permute edge values
ds_bpermute_b32 v16, v6, v16, offset:128           // permute edge values
	;; [unrolled: 1-line block ×7, first 2 shown]
ds_bpermute_b32 v9, v6, v9, offset:128             // permute edge values
ds_bpermute_b32 v13, v6, v13, offset:128           // permute edge values
ds_bpermute_b32 v17, v6, v17, offset:128           // permute edge values
	;; [unrolled: 1-line block ×23, first 2 shown]
s_waitcnt lgkmcnt(0)                               // wait for swizzle operation
s_mov_b32 s54, 1                                   // which thread need to shfit in this block
_v_cmpx_eq_u32 s[54:55], v7, s54                   // is thread in edge glvw region
s_nop 3                                            // wait for exec mask
v_accvgpr_write_b32 acc8, v8                       // 
v_accvgpr_write_b32 acc24, v12                     // 
v_accvgpr_write_b32 acc40, v16                     // 
v_accvgpr_write_b32 acc56, v20                     // 
v_accvgpr_write_b32 acc72, v24                     // 
v_accvgpr_write_b32 acc88, v28                     // 
v_accvgpr_write_b32 acc104, v32                    // 
v_accvgpr_write_b32 acc120, v36                    // 
v_accvgpr_write_b32 acc9, v9                       // 
v_accvgpr_write_b32 acc25, v13                     // 
v_accvgpr_write_b32 acc41, v17                     // 
v_accvgpr_write_b32 acc57, v21                     // 
v_accvgpr_write_b32 acc73, v25                     // 
v_accvgpr_write_b32 acc89, v29                     // 
v_accvgpr_write_b32 acc105, v33                    // 
v_accvgpr_write_b32 acc121, v37                    // 
v_accvgpr_write_b32 acc10, v10                     // 
v_accvgpr_write_b32 acc26, v14                     // 
v_accvgpr_write_b32 acc42, v18                     // 
v_accvgpr_write_b32 acc58, v22                     // 
v_accvgpr_write_b32 acc74, v26                     // 
v_accvgpr_write_b32 acc90, v30                     // 
v_accvgpr_write_b32 acc106, v34                    // 
v_accvgpr_write_b32 acc122, v38                    // 
v_accvgpr_write_b32 acc11, v11                     // 
v_accvgpr_write_b32 acc27, v15                     // 
v_accvgpr_write_b32 acc43, v19                     // 
v_accvgpr_write_b32 acc59, v23                     // 
v_accvgpr_write_b32 acc75, v27                     // 
v_accvgpr_write_b32 acc91, v31                     // 
v_accvgpr_write_b32 acc107, v35                    // 
v_accvgpr_write_b32 acc123, v39                    // 
s_mov_b64 s[54:55], 0xFFFFFFFFFFFFFFFF             // to restore all threads active
s_or_saveexec_b64 vcc, s[54:55]                    // all threads active
s_nop 3                                            // wait for exec mask
v_accvgpr_read_b32 v8, acc12                       // 
v_accvgpr_read_b32 v12, acc28                      // 
v_accvgpr_read_b32 v16, acc44                      // 
v_accvgpr_read_b32 v20, acc60                      // 
v_accvgpr_read_b32 v24, acc76                      // 
v_accvgpr_read_b32 v28, acc92                      // 
v_accvgpr_read_b32 v32, acc108                     // 
v_accvgpr_read_b32 v36, acc124                     // 
v_accvgpr_read_b32 v9, acc13                       // 
v_accvgpr_read_b32 v13, acc29                      // 
v_accvgpr_read_b32 v17, acc45                      // 
v_accvgpr_read_b32 v21, acc61                      // 
v_accvgpr_read_b32 v25, acc77                      // 
v_accvgpr_read_b32 v29, acc93                      // 
v_accvgpr_read_b32 v33, acc109                     // 
v_accvgpr_read_b32 v37, acc125                     // 
v_accvgpr_read_b32 v10, acc14                      // 
v_accvgpr_read_b32 v14, acc30                      // 
v_accvgpr_read_b32 v18, acc46                      // 
v_accvgpr_read_b32 v22, acc62                      // 
v_accvgpr_read_b32 v26, acc78                      // 
v_accvgpr_read_b32 v30, acc94                      // 
v_accvgpr_read_b32 v34, acc110                     // 
v_accvgpr_read_b32 v38, acc126                     // 
v_accvgpr_read_b32 v11, acc15                      // 
v_accvgpr_read_b32 v15, acc31                      // 
v_accvgpr_read_b32 v19, acc47                      // 
v_accvgpr_read_b32 v23, acc63                      // 
v_accvgpr_read_b32 v27, acc79                      // 
v_accvgpr_read_b32 v31, acc95                      // 
v_accvgpr_read_b32 v35, acc111                     // 
v_accvgpr_read_b32 v39, acc127                     // 
s_nop 1                                            // v_accvgpr read vgpr after write vgpr: 2 wait states
ds_bpermute_b32 v8, v6, v8, offset:128             // permute edge values
ds_bpermute_b32 v12, v6, v12, offset:128           // permute edge values
ds_bpermute_b32 v16, v6, v16, offset:128           // permute edge values
	;; [unrolled: 1-line block ×7, first 2 shown]
ds_bpermute_b32 v9, v6, v9, offset:128             // permute edge values
ds_bpermute_b32 v13, v6, v13, offset:128           // permute edge values
ds_bpermute_b32 v17, v6, v17, offset:128           // permute edge values
	;; [unrolled: 1-line block ×23, first 2 shown]
s_waitcnt lgkmcnt(0)                               // wait for swizzle operation
s_mov_b32 s54, 0                                   // which thread need to shfit in this block
_v_cmpx_eq_u32 s[54:55], v7, s54                   // is thread in edge glvw region
s_nop 3                                            // wait for exec mask
v_accvgpr_write_b32 acc12, v8                      // 
v_accvgpr_write_b32 acc28, v12                     // 
v_accvgpr_write_b32 acc44, v16                     // 
v_accvgpr_write_b32 acc60, v20                     // 
v_accvgpr_write_b32 acc76, v24                     // 
v_accvgpr_write_b32 acc92, v28                     // 
v_accvgpr_write_b32 acc108, v32                    // 
v_accvgpr_write_b32 acc124, v36                    // 
v_accvgpr_write_b32 acc13, v9                      // 
v_accvgpr_write_b32 acc29, v13                     // 
v_accvgpr_write_b32 acc45, v17                     // 
v_accvgpr_write_b32 acc61, v21                     // 
v_accvgpr_write_b32 acc77, v25                     // 
v_accvgpr_write_b32 acc93, v29                     // 
v_accvgpr_write_b32 acc109, v33                    // 
v_accvgpr_write_b32 acc125, v37                    // 
v_accvgpr_write_b32 acc14, v10                     // 
v_accvgpr_write_b32 acc30, v14                     // 
v_accvgpr_write_b32 acc46, v18                     // 
v_accvgpr_write_b32 acc62, v22                     // 
v_accvgpr_write_b32 acc78, v26                     // 
v_accvgpr_write_b32 acc94, v30                     // 
v_accvgpr_write_b32 acc110, v34                    // 
v_accvgpr_write_b32 acc126, v38                    // 
v_accvgpr_write_b32 acc15, v11                     // 
v_accvgpr_write_b32 acc31, v15                     // 
v_accvgpr_write_b32 acc47, v19                     // 
v_accvgpr_write_b32 acc63, v23                     // 
v_accvgpr_write_b32 acc79, v27                     // 
v_accvgpr_write_b32 acc95, v31                     // 
v_accvgpr_write_b32 acc111, v35                    // 
v_accvgpr_write_b32 acc127, v39                    // 
s_mov_b64 s[54:55], 0xFFFFFFFFFFFFFFFF             // to restore all threads active
s_or_saveexec_b64 vcc, s[54:55]                    // all threads active
s_nop 3                                            // wait for exec mask
s_branch label_0074                                // done

/******************************************/
/* shift d0 shift=13 glvwblk=0            */
/******************************************/
label_0066:
v_and_b32 v6, 63, v[vgprSerial]                    // permute register between threads
v_lshlrev_b32 v6, 0x2, v6                          // permute register between threads
v_lshrrev_b32 v0, 5, v[vgprSerial]                 // v0 = v[vgprSerial] / 32
v_and_b32 v7, 1, v0                                // v7 = v0 % 2
v_accvgpr_read_b32 v8, acc3                        // 
v_accvgpr_read_b32 v12, acc19                      // 
v_accvgpr_read_b32 v16, acc35                      // 
v_accvgpr_read_b32 v20, acc51                      // 
v_accvgpr_read_b32 v24, acc67                      // 
v_accvgpr_read_b32 v28, acc83                      // 
v_accvgpr_read_b32 v32, acc99                      // 
v_accvgpr_read_b32 v36, acc115                     // 
v_accvgpr_read_b32 v9, acc0                        // 
v_accvgpr_read_b32 v13, acc16                      // 
v_accvgpr_read_b32 v17, acc32                      // 
v_accvgpr_read_b32 v21, acc48                      // 
v_accvgpr_read_b32 v25, acc64                      // 
v_accvgpr_read_b32 v29, acc80                      // 
v_accvgpr_read_b32 v33, acc96                      // 
v_accvgpr_read_b32 v37, acc112                     // 
v_accvgpr_read_b32 v10, acc1                       // 
v_accvgpr_read_b32 v14, acc17                      // 
v_accvgpr_read_b32 v18, acc33                      // 
v_accvgpr_read_b32 v22, acc49                      // 
v_accvgpr_read_b32 v26, acc65                      // 
v_accvgpr_read_b32 v30, acc81                      // 
v_accvgpr_read_b32 v34, acc97                      // 
v_accvgpr_read_b32 v38, acc113                     // 
v_accvgpr_read_b32 v11, acc2                       // 
v_accvgpr_read_b32 v15, acc18                      // 
v_accvgpr_read_b32 v19, acc34                      // 
v_accvgpr_read_b32 v23, acc50                      // 
v_accvgpr_read_b32 v27, acc66                      // 
v_accvgpr_read_b32 v31, acc82                      // 
v_accvgpr_read_b32 v35, acc98                      // 
v_accvgpr_read_b32 v39, acc114                     // 
s_nop 1                                            // v_accvgpr read vgpr after write vgpr: 2 wait states
ds_bpermute_b32 v9, v6, v9, offset:128             // permute edge values
ds_bpermute_b32 v13, v6, v13, offset:128           // permute edge values
ds_bpermute_b32 v17, v6, v17, offset:128           // permute edge values
	;; [unrolled: 1-line block ×23, first 2 shown]
s_waitcnt lgkmcnt(0)                               // wait for swizzle operation
s_mov_b32 s54, 0                                   // which thread need to shfit in this block
_v_cmpx_eq_u32 s[54:55], v7, s54                   // is thread in edge glvw region
s_nop 3                                            // wait for exec mask
v_accvgpr_write_b32 acc0, v8                       // 
v_accvgpr_write_b32 acc16, v12                     // 
v_accvgpr_write_b32 acc32, v16                     // 
v_accvgpr_write_b32 acc48, v20                     // 
v_accvgpr_write_b32 acc64, v24                     // 
v_accvgpr_write_b32 acc80, v28                     // 
v_accvgpr_write_b32 acc96, v32                     // 
v_accvgpr_write_b32 acc112, v36                    // 
v_accvgpr_write_b32 acc1, v9                       // 
v_accvgpr_write_b32 acc17, v13                     // 
v_accvgpr_write_b32 acc33, v17                     // 
v_accvgpr_write_b32 acc49, v21                     // 
v_accvgpr_write_b32 acc65, v25                     // 
v_accvgpr_write_b32 acc81, v29                     // 
v_accvgpr_write_b32 acc97, v33                     // 
v_accvgpr_write_b32 acc113, v37                    // 
v_accvgpr_write_b32 acc2, v10                      // 
v_accvgpr_write_b32 acc18, v14                     // 
v_accvgpr_write_b32 acc34, v18                     // 
v_accvgpr_write_b32 acc50, v22                     // 
v_accvgpr_write_b32 acc66, v26                     // 
v_accvgpr_write_b32 acc82, v30                     // 
v_accvgpr_write_b32 acc98, v34                     // 
v_accvgpr_write_b32 acc114, v38                    // 
v_accvgpr_write_b32 acc3, v11                      // 
v_accvgpr_write_b32 acc19, v15                     // 
v_accvgpr_write_b32 acc35, v19                     // 
v_accvgpr_write_b32 acc51, v23                     // 
v_accvgpr_write_b32 acc67, v27                     // 
v_accvgpr_write_b32 acc83, v31                     // 
v_accvgpr_write_b32 acc99, v35                     // 
v_accvgpr_write_b32 acc115, v39                    // 
s_mov_b64 s[54:55], 0xFFFFFFFFFFFFFFFF             // to restore all threads active
s_or_saveexec_b64 vcc, s[54:55]                    // all threads active
s_nop 3                                            // wait for exec mask
v_accvgpr_read_b32 v8, acc3                        // 
v_accvgpr_read_b32 v12, acc19                      // 
v_accvgpr_read_b32 v16, acc35                      // 
v_accvgpr_read_b32 v20, acc51                      // 
v_accvgpr_read_b32 v24, acc67                      // 
v_accvgpr_read_b32 v28, acc83                      // 
v_accvgpr_read_b32 v32, acc99                      // 
v_accvgpr_read_b32 v36, acc115                     // 
v_accvgpr_read_b32 v9, acc4                        // 
v_accvgpr_read_b32 v13, acc20                      // 
v_accvgpr_read_b32 v17, acc36                      // 
v_accvgpr_read_b32 v21, acc52                      // 
v_accvgpr_read_b32 v25, acc68                      // 
v_accvgpr_read_b32 v29, acc84                      // 
v_accvgpr_read_b32 v33, acc100                     // 
v_accvgpr_read_b32 v37, acc116                     // 
v_accvgpr_read_b32 v10, acc5                       // 
v_accvgpr_read_b32 v14, acc21                      // 
v_accvgpr_read_b32 v18, acc37                      // 
v_accvgpr_read_b32 v22, acc53                      // 
v_accvgpr_read_b32 v26, acc69                      // 
v_accvgpr_read_b32 v30, acc85                      // 
v_accvgpr_read_b32 v34, acc101                     // 
v_accvgpr_read_b32 v38, acc117                     // 
v_accvgpr_read_b32 v11, acc6                       // 
v_accvgpr_read_b32 v15, acc22                      // 
v_accvgpr_read_b32 v19, acc38                      // 
v_accvgpr_read_b32 v23, acc54                      // 
v_accvgpr_read_b32 v27, acc70                      // 
v_accvgpr_read_b32 v31, acc86                      // 
v_accvgpr_read_b32 v35, acc102                     // 
v_accvgpr_read_b32 v39, acc118                     // 
s_nop 1                                            // v_accvgpr read vgpr after write vgpr: 2 wait states
ds_bpermute_b32 v9, v6, v9, offset:128             // permute edge values
ds_bpermute_b32 v13, v6, v13, offset:128           // permute edge values
ds_bpermute_b32 v17, v6, v17, offset:128           // permute edge values
	;; [unrolled: 1-line block ×23, first 2 shown]
s_waitcnt lgkmcnt(0)                               // wait for swizzle operation
s_mov_b32 s54, 1                                   // which thread need to shfit in this block
_v_cmpx_eq_u32 s[54:55], v7, s54                   // is thread in edge glvw region
s_nop 3                                            // wait for exec mask
v_accvgpr_write_b32 acc0, v8                       // 
v_accvgpr_write_b32 acc16, v12                     // 
v_accvgpr_write_b32 acc32, v16                     // 
v_accvgpr_write_b32 acc48, v20                     // 
v_accvgpr_write_b32 acc64, v24                     // 
v_accvgpr_write_b32 acc80, v28                     // 
v_accvgpr_write_b32 acc96, v32                     // 
v_accvgpr_write_b32 acc112, v36                    // 
v_accvgpr_write_b32 acc1, v9                       // 
v_accvgpr_write_b32 acc17, v13                     // 
v_accvgpr_write_b32 acc33, v17                     // 
v_accvgpr_write_b32 acc49, v21                     // 
v_accvgpr_write_b32 acc65, v25                     // 
v_accvgpr_write_b32 acc81, v29                     // 
v_accvgpr_write_b32 acc97, v33                     // 
v_accvgpr_write_b32 acc113, v37                    // 
v_accvgpr_write_b32 acc2, v10                      // 
v_accvgpr_write_b32 acc18, v14                     // 
v_accvgpr_write_b32 acc34, v18                     // 
v_accvgpr_write_b32 acc50, v22                     // 
v_accvgpr_write_b32 acc66, v26                     // 
v_accvgpr_write_b32 acc82, v30                     // 
v_accvgpr_write_b32 acc98, v34                     // 
v_accvgpr_write_b32 acc114, v38                    // 
v_accvgpr_write_b32 acc3, v11                      // 
v_accvgpr_write_b32 acc19, v15                     // 
v_accvgpr_write_b32 acc35, v19                     // 
v_accvgpr_write_b32 acc51, v23                     // 
v_accvgpr_write_b32 acc67, v27                     // 
v_accvgpr_write_b32 acc83, v31                     // 
v_accvgpr_write_b32 acc99, v35                     // 
v_accvgpr_write_b32 acc115, v39                    // 
s_mov_b64 s[54:55], 0xFFFFFFFFFFFFFFFF             // to restore all threads active
s_or_saveexec_b64 vcc, s[54:55]                    // all threads active
s_nop 3                                            // wait for exec mask
v_accvgpr_read_b32 v8, acc7                        // 
v_accvgpr_read_b32 v12, acc23                      // 
v_accvgpr_read_b32 v16, acc39                      // 
v_accvgpr_read_b32 v20, acc55                      // 
v_accvgpr_read_b32 v24, acc71                      // 
v_accvgpr_read_b32 v28, acc87                      // 
v_accvgpr_read_b32 v32, acc103                     // 
v_accvgpr_read_b32 v36, acc119                     // 
v_accvgpr_read_b32 v9, acc4                        // 
v_accvgpr_read_b32 v13, acc20                      // 
v_accvgpr_read_b32 v17, acc36                      // 
v_accvgpr_read_b32 v21, acc52                      // 
v_accvgpr_read_b32 v25, acc68                      // 
v_accvgpr_read_b32 v29, acc84                      // 
v_accvgpr_read_b32 v33, acc100                     // 
v_accvgpr_read_b32 v37, acc116                     // 
v_accvgpr_read_b32 v10, acc5                       // 
v_accvgpr_read_b32 v14, acc21                      // 
v_accvgpr_read_b32 v18, acc37                      // 
v_accvgpr_read_b32 v22, acc53                      // 
v_accvgpr_read_b32 v26, acc69                      // 
v_accvgpr_read_b32 v30, acc85                      // 
v_accvgpr_read_b32 v34, acc101                     // 
v_accvgpr_read_b32 v38, acc117                     // 
v_accvgpr_read_b32 v11, acc6                       // 
v_accvgpr_read_b32 v15, acc22                      // 
v_accvgpr_read_b32 v19, acc38                      // 
v_accvgpr_read_b32 v23, acc54                      // 
v_accvgpr_read_b32 v27, acc70                      // 
v_accvgpr_read_b32 v31, acc86                      // 
v_accvgpr_read_b32 v35, acc102                     // 
v_accvgpr_read_b32 v39, acc118                     // 
s_nop 1                                            // v_accvgpr read vgpr after write vgpr: 2 wait states
ds_bpermute_b32 v9, v6, v9, offset:128             // permute edge values
ds_bpermute_b32 v13, v6, v13, offset:128           // permute edge values
ds_bpermute_b32 v17, v6, v17, offset:128           // permute edge values
	;; [unrolled: 1-line block ×23, first 2 shown]
s_waitcnt lgkmcnt(0)                               // wait for swizzle operation
s_mov_b32 s54, 0                                   // which thread need to shfit in this block
_v_cmpx_eq_u32 s[54:55], v7, s54                   // is thread in edge glvw region
s_nop 3                                            // wait for exec mask
v_accvgpr_write_b32 acc4, v8                       // 
v_accvgpr_write_b32 acc20, v12                     // 
v_accvgpr_write_b32 acc36, v16                     // 
v_accvgpr_write_b32 acc52, v20                     // 
v_accvgpr_write_b32 acc68, v24                     // 
v_accvgpr_write_b32 acc84, v28                     // 
v_accvgpr_write_b32 acc100, v32                    // 
v_accvgpr_write_b32 acc116, v36                    // 
v_accvgpr_write_b32 acc5, v9                       // 
v_accvgpr_write_b32 acc21, v13                     // 
v_accvgpr_write_b32 acc37, v17                     // 
v_accvgpr_write_b32 acc53, v21                     // 
v_accvgpr_write_b32 acc69, v25                     // 
v_accvgpr_write_b32 acc85, v29                     // 
v_accvgpr_write_b32 acc101, v33                    // 
v_accvgpr_write_b32 acc117, v37                    // 
v_accvgpr_write_b32 acc6, v10                      // 
v_accvgpr_write_b32 acc22, v14                     // 
v_accvgpr_write_b32 acc38, v18                     // 
v_accvgpr_write_b32 acc54, v22                     // 
v_accvgpr_write_b32 acc70, v26                     // 
v_accvgpr_write_b32 acc86, v30                     // 
v_accvgpr_write_b32 acc102, v34                    // 
v_accvgpr_write_b32 acc118, v38                    // 
v_accvgpr_write_b32 acc7, v11                      // 
v_accvgpr_write_b32 acc23, v15                     // 
v_accvgpr_write_b32 acc39, v19                     // 
v_accvgpr_write_b32 acc55, v23                     // 
v_accvgpr_write_b32 acc71, v27                     // 
v_accvgpr_write_b32 acc87, v31                     // 
v_accvgpr_write_b32 acc103, v35                    // 
v_accvgpr_write_b32 acc119, v39                    // 
s_mov_b64 s[54:55], 0xFFFFFFFFFFFFFFFF             // to restore all threads active
s_or_saveexec_b64 vcc, s[54:55]                    // all threads active
s_nop 3                                            // wait for exec mask
v_accvgpr_read_b32 v8, acc7                        // 
v_accvgpr_read_b32 v12, acc23                      // 
v_accvgpr_read_b32 v16, acc39                      // 
v_accvgpr_read_b32 v20, acc55                      // 
v_accvgpr_read_b32 v24, acc71                      // 
v_accvgpr_read_b32 v28, acc87                      // 
v_accvgpr_read_b32 v32, acc103                     // 
v_accvgpr_read_b32 v36, acc119                     // 
s_nop 1                                            // v_accvgpr read vgpr after write vgpr: 2 wait states
s_mov_b32 s54, 1                                   // which thread need to shfit in this block
_v_cmpx_eq_u32 s[54:55], v7, s54                   // is thread in edge glvw region
s_nop 3                                            // wait for exec mask
v_accvgpr_write_b32 acc4, v8                       // 
v_accvgpr_write_b32 acc20, v12                     // 
v_accvgpr_write_b32 acc36, v16                     // 
v_accvgpr_write_b32 acc52, v20                     // 
v_accvgpr_write_b32 acc68, v24                     // 
v_accvgpr_write_b32 acc84, v28                     // 
v_accvgpr_write_b32 acc100, v32                    // 
v_accvgpr_write_b32 acc116, v36                    // 
s_mov_b64 s[54:55], 0xFFFFFFFFFFFFFFFF             // to restore all threads active
s_or_saveexec_b64 vcc, s[54:55]                    // all threads active
s_nop 3                                            // wait for exec mask
s_branch label_0074                                // done

/******************************************/
/* shift d0 shift=13 glvwblk=1            */
/******************************************/
label_0067:
v_and_b32 v6, 63, v[vgprSerial]                    // permute register between threads
v_lshlrev_b32 v6, 0x2, v6                          // permute register between threads
v_lshrrev_b32 v0, 5, v[vgprSerial]                 // v0 = v[vgprSerial] / 32
v_and_b32 v7, 1, v0                                // v7 = v0 % 2
v_accvgpr_read_b32 v8, acc11                       // 
v_accvgpr_read_b32 v12, acc27                      // 
v_accvgpr_read_b32 v16, acc43                      // 
v_accvgpr_read_b32 v20, acc59                      // 
v_accvgpr_read_b32 v24, acc75                      // 
v_accvgpr_read_b32 v28, acc91                      // 
v_accvgpr_read_b32 v32, acc107                     // 
v_accvgpr_read_b32 v36, acc123                     // 
v_accvgpr_read_b32 v9, acc8                        // 
v_accvgpr_read_b32 v13, acc24                      // 
v_accvgpr_read_b32 v17, acc40                      // 
v_accvgpr_read_b32 v21, acc56                      // 
v_accvgpr_read_b32 v25, acc72                      // 
v_accvgpr_read_b32 v29, acc88                      // 
v_accvgpr_read_b32 v33, acc104                     // 
v_accvgpr_read_b32 v37, acc120                     // 
v_accvgpr_read_b32 v10, acc9                       // 
v_accvgpr_read_b32 v14, acc25                      // 
v_accvgpr_read_b32 v18, acc41                      // 
v_accvgpr_read_b32 v22, acc57                      // 
v_accvgpr_read_b32 v26, acc73                      // 
v_accvgpr_read_b32 v30, acc89                      // 
v_accvgpr_read_b32 v34, acc105                     // 
v_accvgpr_read_b32 v38, acc121                     // 
v_accvgpr_read_b32 v11, acc10                      // 
v_accvgpr_read_b32 v15, acc26                      // 
v_accvgpr_read_b32 v19, acc42                      // 
v_accvgpr_read_b32 v23, acc58                      // 
v_accvgpr_read_b32 v27, acc74                      // 
v_accvgpr_read_b32 v31, acc90                      // 
v_accvgpr_read_b32 v35, acc106                     // 
v_accvgpr_read_b32 v39, acc122                     // 
s_nop 1                                            // v_accvgpr read vgpr after write vgpr: 2 wait states
ds_bpermute_b32 v9, v6, v9, offset:128             // permute edge values
ds_bpermute_b32 v13, v6, v13, offset:128           // permute edge values
ds_bpermute_b32 v17, v6, v17, offset:128           // permute edge values
	;; [unrolled: 1-line block ×23, first 2 shown]
s_waitcnt lgkmcnt(0)                               // wait for swizzle operation
s_mov_b32 s54, 0                                   // which thread need to shfit in this block
_v_cmpx_eq_u32 s[54:55], v7, s54                   // is thread in edge glvw region
s_nop 3                                            // wait for exec mask
v_accvgpr_write_b32 acc8, v8                       // 
v_accvgpr_write_b32 acc24, v12                     // 
v_accvgpr_write_b32 acc40, v16                     // 
v_accvgpr_write_b32 acc56, v20                     // 
v_accvgpr_write_b32 acc72, v24                     // 
v_accvgpr_write_b32 acc88, v28                     // 
v_accvgpr_write_b32 acc104, v32                    // 
v_accvgpr_write_b32 acc120, v36                    // 
v_accvgpr_write_b32 acc9, v9                       // 
v_accvgpr_write_b32 acc25, v13                     // 
v_accvgpr_write_b32 acc41, v17                     // 
v_accvgpr_write_b32 acc57, v21                     // 
v_accvgpr_write_b32 acc73, v25                     // 
v_accvgpr_write_b32 acc89, v29                     // 
v_accvgpr_write_b32 acc105, v33                    // 
v_accvgpr_write_b32 acc121, v37                    // 
v_accvgpr_write_b32 acc10, v10                     // 
v_accvgpr_write_b32 acc26, v14                     // 
v_accvgpr_write_b32 acc42, v18                     // 
v_accvgpr_write_b32 acc58, v22                     // 
v_accvgpr_write_b32 acc74, v26                     // 
v_accvgpr_write_b32 acc90, v30                     // 
v_accvgpr_write_b32 acc106, v34                    // 
v_accvgpr_write_b32 acc122, v38                    // 
v_accvgpr_write_b32 acc11, v11                     // 
v_accvgpr_write_b32 acc27, v15                     // 
v_accvgpr_write_b32 acc43, v19                     // 
v_accvgpr_write_b32 acc59, v23                     // 
v_accvgpr_write_b32 acc75, v27                     // 
v_accvgpr_write_b32 acc91, v31                     // 
v_accvgpr_write_b32 acc107, v35                    // 
v_accvgpr_write_b32 acc123, v39                    // 
s_mov_b64 s[54:55], 0xFFFFFFFFFFFFFFFF             // to restore all threads active
s_or_saveexec_b64 vcc, s[54:55]                    // all threads active
s_nop 3                                            // wait for exec mask
v_accvgpr_read_b32 v8, acc11                       // 
v_accvgpr_read_b32 v12, acc27                      // 
v_accvgpr_read_b32 v16, acc43                      // 
v_accvgpr_read_b32 v20, acc59                      // 
v_accvgpr_read_b32 v24, acc75                      // 
v_accvgpr_read_b32 v28, acc91                      // 
v_accvgpr_read_b32 v32, acc107                     // 
v_accvgpr_read_b32 v36, acc123                     // 
v_accvgpr_read_b32 v9, acc12                       // 
v_accvgpr_read_b32 v13, acc28                      // 
v_accvgpr_read_b32 v17, acc44                      // 
v_accvgpr_read_b32 v21, acc60                      // 
v_accvgpr_read_b32 v25, acc76                      // 
v_accvgpr_read_b32 v29, acc92                      // 
v_accvgpr_read_b32 v33, acc108                     // 
v_accvgpr_read_b32 v37, acc124                     // 
v_accvgpr_read_b32 v10, acc13                      // 
v_accvgpr_read_b32 v14, acc29                      // 
v_accvgpr_read_b32 v18, acc45                      // 
v_accvgpr_read_b32 v22, acc61                      // 
v_accvgpr_read_b32 v26, acc77                      // 
v_accvgpr_read_b32 v30, acc93                      // 
v_accvgpr_read_b32 v34, acc109                     // 
v_accvgpr_read_b32 v38, acc125                     // 
v_accvgpr_read_b32 v11, acc14                      // 
v_accvgpr_read_b32 v15, acc30                      // 
v_accvgpr_read_b32 v19, acc46                      // 
v_accvgpr_read_b32 v23, acc62                      // 
v_accvgpr_read_b32 v27, acc78                      // 
v_accvgpr_read_b32 v31, acc94                      // 
v_accvgpr_read_b32 v35, acc110                     // 
v_accvgpr_read_b32 v39, acc126                     // 
s_nop 1                                            // v_accvgpr read vgpr after write vgpr: 2 wait states
ds_bpermute_b32 v9, v6, v9, offset:128             // permute edge values
ds_bpermute_b32 v13, v6, v13, offset:128           // permute edge values
ds_bpermute_b32 v17, v6, v17, offset:128           // permute edge values
	;; [unrolled: 1-line block ×23, first 2 shown]
s_waitcnt lgkmcnt(0)                               // wait for swizzle operation
s_mov_b32 s54, 1                                   // which thread need to shfit in this block
_v_cmpx_eq_u32 s[54:55], v7, s54                   // is thread in edge glvw region
s_nop 3                                            // wait for exec mask
v_accvgpr_write_b32 acc8, v8                       // 
v_accvgpr_write_b32 acc24, v12                     // 
v_accvgpr_write_b32 acc40, v16                     // 
v_accvgpr_write_b32 acc56, v20                     // 
v_accvgpr_write_b32 acc72, v24                     // 
v_accvgpr_write_b32 acc88, v28                     // 
v_accvgpr_write_b32 acc104, v32                    // 
v_accvgpr_write_b32 acc120, v36                    // 
v_accvgpr_write_b32 acc9, v9                       // 
v_accvgpr_write_b32 acc25, v13                     // 
v_accvgpr_write_b32 acc41, v17                     // 
v_accvgpr_write_b32 acc57, v21                     // 
v_accvgpr_write_b32 acc73, v25                     // 
v_accvgpr_write_b32 acc89, v29                     // 
v_accvgpr_write_b32 acc105, v33                    // 
v_accvgpr_write_b32 acc121, v37                    // 
v_accvgpr_write_b32 acc10, v10                     // 
v_accvgpr_write_b32 acc26, v14                     // 
v_accvgpr_write_b32 acc42, v18                     // 
v_accvgpr_write_b32 acc58, v22                     // 
v_accvgpr_write_b32 acc74, v26                     // 
v_accvgpr_write_b32 acc90, v30                     // 
v_accvgpr_write_b32 acc106, v34                    // 
v_accvgpr_write_b32 acc122, v38                    // 
v_accvgpr_write_b32 acc11, v11                     // 
v_accvgpr_write_b32 acc27, v15                     // 
v_accvgpr_write_b32 acc43, v19                     // 
v_accvgpr_write_b32 acc59, v23                     // 
v_accvgpr_write_b32 acc75, v27                     // 
v_accvgpr_write_b32 acc91, v31                     // 
v_accvgpr_write_b32 acc107, v35                    // 
v_accvgpr_write_b32 acc123, v39                    // 
s_mov_b64 s[54:55], 0xFFFFFFFFFFFFFFFF             // to restore all threads active
s_or_saveexec_b64 vcc, s[54:55]                    // all threads active
s_nop 3                                            // wait for exec mask
v_accvgpr_read_b32 v8, acc15                       // 
v_accvgpr_read_b32 v12, acc31                      // 
v_accvgpr_read_b32 v16, acc47                      // 
v_accvgpr_read_b32 v20, acc63                      // 
v_accvgpr_read_b32 v24, acc79                      // 
v_accvgpr_read_b32 v28, acc95                      // 
v_accvgpr_read_b32 v32, acc111                     // 
v_accvgpr_read_b32 v36, acc127                     // 
v_accvgpr_read_b32 v9, acc12                       // 
v_accvgpr_read_b32 v13, acc28                      // 
v_accvgpr_read_b32 v17, acc44                      // 
v_accvgpr_read_b32 v21, acc60                      // 
v_accvgpr_read_b32 v25, acc76                      // 
v_accvgpr_read_b32 v29, acc92                      // 
v_accvgpr_read_b32 v33, acc108                     // 
v_accvgpr_read_b32 v37, acc124                     // 
v_accvgpr_read_b32 v10, acc13                      // 
v_accvgpr_read_b32 v14, acc29                      // 
v_accvgpr_read_b32 v18, acc45                      // 
v_accvgpr_read_b32 v22, acc61                      // 
v_accvgpr_read_b32 v26, acc77                      // 
v_accvgpr_read_b32 v30, acc93                      // 
v_accvgpr_read_b32 v34, acc109                     // 
v_accvgpr_read_b32 v38, acc125                     // 
v_accvgpr_read_b32 v11, acc14                      // 
v_accvgpr_read_b32 v15, acc30                      // 
v_accvgpr_read_b32 v19, acc46                      // 
v_accvgpr_read_b32 v23, acc62                      // 
v_accvgpr_read_b32 v27, acc78                      // 
v_accvgpr_read_b32 v31, acc94                      // 
v_accvgpr_read_b32 v35, acc110                     // 
v_accvgpr_read_b32 v39, acc126                     // 
s_nop 1                                            // v_accvgpr read vgpr after write vgpr: 2 wait states
ds_bpermute_b32 v9, v6, v9, offset:128             // permute edge values
ds_bpermute_b32 v13, v6, v13, offset:128           // permute edge values
ds_bpermute_b32 v17, v6, v17, offset:128           // permute edge values
	;; [unrolled: 1-line block ×23, first 2 shown]
s_waitcnt lgkmcnt(0)                               // wait for swizzle operation
s_mov_b32 s54, 0                                   // which thread need to shfit in this block
_v_cmpx_eq_u32 s[54:55], v7, s54                   // is thread in edge glvw region
s_nop 3                                            // wait for exec mask
v_accvgpr_write_b32 acc12, v8                      // 
v_accvgpr_write_b32 acc28, v12                     // 
v_accvgpr_write_b32 acc44, v16                     // 
v_accvgpr_write_b32 acc60, v20                     // 
v_accvgpr_write_b32 acc76, v24                     // 
v_accvgpr_write_b32 acc92, v28                     // 
v_accvgpr_write_b32 acc108, v32                    // 
v_accvgpr_write_b32 acc124, v36                    // 
v_accvgpr_write_b32 acc13, v9                      // 
v_accvgpr_write_b32 acc29, v13                     // 
v_accvgpr_write_b32 acc45, v17                     // 
v_accvgpr_write_b32 acc61, v21                     // 
v_accvgpr_write_b32 acc77, v25                     // 
v_accvgpr_write_b32 acc93, v29                     // 
v_accvgpr_write_b32 acc109, v33                    // 
v_accvgpr_write_b32 acc125, v37                    // 
v_accvgpr_write_b32 acc14, v10                     // 
v_accvgpr_write_b32 acc30, v14                     // 
v_accvgpr_write_b32 acc46, v18                     // 
v_accvgpr_write_b32 acc62, v22                     // 
v_accvgpr_write_b32 acc78, v26                     // 
v_accvgpr_write_b32 acc94, v30                     // 
v_accvgpr_write_b32 acc110, v34                    // 
v_accvgpr_write_b32 acc126, v38                    // 
v_accvgpr_write_b32 acc15, v11                     // 
v_accvgpr_write_b32 acc31, v15                     // 
v_accvgpr_write_b32 acc47, v19                     // 
v_accvgpr_write_b32 acc63, v23                     // 
v_accvgpr_write_b32 acc79, v27                     // 
v_accvgpr_write_b32 acc95, v31                     // 
v_accvgpr_write_b32 acc111, v35                    // 
v_accvgpr_write_b32 acc127, v39                    // 
s_mov_b64 s[54:55], 0xFFFFFFFFFFFFFFFF             // to restore all threads active
s_or_saveexec_b64 vcc, s[54:55]                    // all threads active
s_nop 3                                            // wait for exec mask
v_accvgpr_read_b32 v8, acc15                       // 
v_accvgpr_read_b32 v12, acc31                      // 
v_accvgpr_read_b32 v16, acc47                      // 
v_accvgpr_read_b32 v20, acc63                      // 
v_accvgpr_read_b32 v24, acc79                      // 
v_accvgpr_read_b32 v28, acc95                      // 
v_accvgpr_read_b32 v32, acc111                     // 
v_accvgpr_read_b32 v36, acc127                     // 
s_nop 1                                            // v_accvgpr read vgpr after write vgpr: 2 wait states
s_mov_b32 s54, 1                                   // which thread need to shfit in this block
_v_cmpx_eq_u32 s[54:55], v7, s54                   // is thread in edge glvw region
s_nop 3                                            // wait for exec mask
v_accvgpr_write_b32 acc12, v8                      // 
v_accvgpr_write_b32 acc28, v12                     // 
v_accvgpr_write_b32 acc44, v16                     // 
v_accvgpr_write_b32 acc60, v20                     // 
v_accvgpr_write_b32 acc76, v24                     // 
v_accvgpr_write_b32 acc92, v28                     // 
v_accvgpr_write_b32 acc108, v32                    // 
v_accvgpr_write_b32 acc124, v36                    // 
s_mov_b64 s[54:55], 0xFFFFFFFFFFFFFFFF             // to restore all threads active
s_or_saveexec_b64 vcc, s[54:55]                    // all threads active
s_nop 3                                            // wait for exec mask
s_branch label_0074                                // done

/******************************************/
/* shift d0 shift=14 glvwblk=0            */
/******************************************/
label_0069:
v_and_b32 v6, 63, v[vgprSerial]                    // permute register between threads
v_lshlrev_b32 v6, 0x2, v6                          // permute register between threads
v_lshrrev_b32 v0, 5, v[vgprSerial]                 // v0 = v[vgprSerial] / 32
v_and_b32 v7, 1, v0                                // v7 = v0 % 2
v_accvgpr_read_b32 v8, acc2                        // 
v_accvgpr_read_b32 v12, acc18                      // 
v_accvgpr_read_b32 v16, acc34                      // 
v_accvgpr_read_b32 v20, acc50                      // 
v_accvgpr_read_b32 v24, acc66                      // 
v_accvgpr_read_b32 v28, acc82                      // 
v_accvgpr_read_b32 v32, acc98                      // 
v_accvgpr_read_b32 v36, acc114                     // 
v_accvgpr_read_b32 v9, acc3                        // 
v_accvgpr_read_b32 v13, acc19                      // 
v_accvgpr_read_b32 v17, acc35                      // 
v_accvgpr_read_b32 v21, acc51                      // 
v_accvgpr_read_b32 v25, acc67                      // 
v_accvgpr_read_b32 v29, acc83                      // 
v_accvgpr_read_b32 v33, acc99                      // 
v_accvgpr_read_b32 v37, acc115                     // 
v_accvgpr_read_b32 v10, acc0                       // 
v_accvgpr_read_b32 v14, acc16                      // 
v_accvgpr_read_b32 v18, acc32                      // 
v_accvgpr_read_b32 v22, acc48                      // 
v_accvgpr_read_b32 v26, acc64                      // 
v_accvgpr_read_b32 v30, acc80                      // 
v_accvgpr_read_b32 v34, acc96                      // 
v_accvgpr_read_b32 v38, acc112                     // 
v_accvgpr_read_b32 v11, acc1                       // 
v_accvgpr_read_b32 v15, acc17                      // 
v_accvgpr_read_b32 v19, acc33                      // 
v_accvgpr_read_b32 v23, acc49                      // 
v_accvgpr_read_b32 v27, acc65                      // 
v_accvgpr_read_b32 v31, acc81                      // 
v_accvgpr_read_b32 v35, acc97                      // 
v_accvgpr_read_b32 v39, acc113                     // 
s_nop 1                                            // v_accvgpr read vgpr after write vgpr: 2 wait states
ds_bpermute_b32 v10, v6, v10, offset:128           // permute edge values
ds_bpermute_b32 v14, v6, v14, offset:128           // permute edge values
	;; [unrolled: 1-line block ×16, first 2 shown]
s_waitcnt lgkmcnt(0)                               // wait for swizzle operation
s_mov_b32 s54, 0                                   // which thread need to shfit in this block
_v_cmpx_eq_u32 s[54:55], v7, s54                   // is thread in edge glvw region
s_nop 3                                            // wait for exec mask
v_accvgpr_write_b32 acc0, v8                       // 
v_accvgpr_write_b32 acc16, v12                     // 
v_accvgpr_write_b32 acc32, v16                     // 
v_accvgpr_write_b32 acc48, v20                     // 
v_accvgpr_write_b32 acc64, v24                     // 
v_accvgpr_write_b32 acc80, v28                     // 
v_accvgpr_write_b32 acc96, v32                     // 
v_accvgpr_write_b32 acc112, v36                    // 
v_accvgpr_write_b32 acc1, v9                       // 
v_accvgpr_write_b32 acc17, v13                     // 
v_accvgpr_write_b32 acc33, v17                     // 
v_accvgpr_write_b32 acc49, v21                     // 
v_accvgpr_write_b32 acc65, v25                     // 
v_accvgpr_write_b32 acc81, v29                     // 
v_accvgpr_write_b32 acc97, v33                     // 
v_accvgpr_write_b32 acc113, v37                    // 
v_accvgpr_write_b32 acc2, v10                      // 
v_accvgpr_write_b32 acc18, v14                     // 
v_accvgpr_write_b32 acc34, v18                     // 
v_accvgpr_write_b32 acc50, v22                     // 
v_accvgpr_write_b32 acc66, v26                     // 
v_accvgpr_write_b32 acc82, v30                     // 
v_accvgpr_write_b32 acc98, v34                     // 
v_accvgpr_write_b32 acc114, v38                    // 
v_accvgpr_write_b32 acc3, v11                      // 
v_accvgpr_write_b32 acc19, v15                     // 
v_accvgpr_write_b32 acc35, v19                     // 
v_accvgpr_write_b32 acc51, v23                     // 
v_accvgpr_write_b32 acc67, v27                     // 
v_accvgpr_write_b32 acc83, v31                     // 
v_accvgpr_write_b32 acc99, v35                     // 
v_accvgpr_write_b32 acc115, v39                    // 
s_mov_b64 s[54:55], 0xFFFFFFFFFFFFFFFF             // to restore all threads active
s_or_saveexec_b64 vcc, s[54:55]                    // all threads active
s_nop 3                                            // wait for exec mask
v_accvgpr_read_b32 v8, acc2                        // 
v_accvgpr_read_b32 v12, acc18                      // 
v_accvgpr_read_b32 v16, acc34                      // 
v_accvgpr_read_b32 v20, acc50                      // 
v_accvgpr_read_b32 v24, acc66                      // 
v_accvgpr_read_b32 v28, acc82                      // 
v_accvgpr_read_b32 v32, acc98                      // 
v_accvgpr_read_b32 v36, acc114                     // 
v_accvgpr_read_b32 v9, acc3                        // 
v_accvgpr_read_b32 v13, acc19                      // 
v_accvgpr_read_b32 v17, acc35                      // 
v_accvgpr_read_b32 v21, acc51                      // 
v_accvgpr_read_b32 v25, acc67                      // 
v_accvgpr_read_b32 v29, acc83                      // 
v_accvgpr_read_b32 v33, acc99                      // 
v_accvgpr_read_b32 v37, acc115                     // 
v_accvgpr_read_b32 v10, acc4                       // 
v_accvgpr_read_b32 v14, acc20                      // 
v_accvgpr_read_b32 v18, acc36                      // 
v_accvgpr_read_b32 v22, acc52                      // 
v_accvgpr_read_b32 v26, acc68                      // 
v_accvgpr_read_b32 v30, acc84                      // 
v_accvgpr_read_b32 v34, acc100                     // 
v_accvgpr_read_b32 v38, acc116                     // 
v_accvgpr_read_b32 v11, acc5                       // 
v_accvgpr_read_b32 v15, acc21                      // 
v_accvgpr_read_b32 v19, acc37                      // 
v_accvgpr_read_b32 v23, acc53                      // 
v_accvgpr_read_b32 v27, acc69                      // 
v_accvgpr_read_b32 v31, acc85                      // 
v_accvgpr_read_b32 v35, acc101                     // 
v_accvgpr_read_b32 v39, acc117                     // 
s_nop 1                                            // v_accvgpr read vgpr after write vgpr: 2 wait states
ds_bpermute_b32 v10, v6, v10, offset:128           // permute edge values
ds_bpermute_b32 v14, v6, v14, offset:128           // permute edge values
	;; [unrolled: 1-line block ×16, first 2 shown]
s_waitcnt lgkmcnt(0)                               // wait for swizzle operation
s_mov_b32 s54, 1                                   // which thread need to shfit in this block
_v_cmpx_eq_u32 s[54:55], v7, s54                   // is thread in edge glvw region
s_nop 3                                            // wait for exec mask
v_accvgpr_write_b32 acc0, v8                       // 
v_accvgpr_write_b32 acc16, v12                     // 
v_accvgpr_write_b32 acc32, v16                     // 
v_accvgpr_write_b32 acc48, v20                     // 
v_accvgpr_write_b32 acc64, v24                     // 
v_accvgpr_write_b32 acc80, v28                     // 
v_accvgpr_write_b32 acc96, v32                     // 
v_accvgpr_write_b32 acc112, v36                    // 
v_accvgpr_write_b32 acc1, v9                       // 
v_accvgpr_write_b32 acc17, v13                     // 
v_accvgpr_write_b32 acc33, v17                     // 
v_accvgpr_write_b32 acc49, v21                     // 
v_accvgpr_write_b32 acc65, v25                     // 
v_accvgpr_write_b32 acc81, v29                     // 
v_accvgpr_write_b32 acc97, v33                     // 
v_accvgpr_write_b32 acc113, v37                    // 
v_accvgpr_write_b32 acc2, v10                      // 
v_accvgpr_write_b32 acc18, v14                     // 
v_accvgpr_write_b32 acc34, v18                     // 
v_accvgpr_write_b32 acc50, v22                     // 
v_accvgpr_write_b32 acc66, v26                     // 
v_accvgpr_write_b32 acc82, v30                     // 
v_accvgpr_write_b32 acc98, v34                     // 
v_accvgpr_write_b32 acc114, v38                    // 
v_accvgpr_write_b32 acc3, v11                      // 
v_accvgpr_write_b32 acc19, v15                     // 
v_accvgpr_write_b32 acc35, v19                     // 
v_accvgpr_write_b32 acc51, v23                     // 
v_accvgpr_write_b32 acc67, v27                     // 
v_accvgpr_write_b32 acc83, v31                     // 
v_accvgpr_write_b32 acc99, v35                     // 
v_accvgpr_write_b32 acc115, v39                    // 
s_mov_b64 s[54:55], 0xFFFFFFFFFFFFFFFF             // to restore all threads active
s_or_saveexec_b64 vcc, s[54:55]                    // all threads active
s_nop 3                                            // wait for exec mask
v_accvgpr_read_b32 v8, acc6                        // 
v_accvgpr_read_b32 v12, acc22                      // 
v_accvgpr_read_b32 v16, acc38                      // 
v_accvgpr_read_b32 v20, acc54                      // 
v_accvgpr_read_b32 v24, acc70                      // 
v_accvgpr_read_b32 v28, acc86                      // 
v_accvgpr_read_b32 v32, acc102                     // 
v_accvgpr_read_b32 v36, acc118                     // 
v_accvgpr_read_b32 v9, acc7                        // 
v_accvgpr_read_b32 v13, acc23                      // 
v_accvgpr_read_b32 v17, acc39                      // 
v_accvgpr_read_b32 v21, acc55                      // 
v_accvgpr_read_b32 v25, acc71                      // 
v_accvgpr_read_b32 v29, acc87                      // 
v_accvgpr_read_b32 v33, acc103                     // 
v_accvgpr_read_b32 v37, acc119                     // 
v_accvgpr_read_b32 v10, acc4                       // 
v_accvgpr_read_b32 v14, acc20                      // 
v_accvgpr_read_b32 v18, acc36                      // 
v_accvgpr_read_b32 v22, acc52                      // 
v_accvgpr_read_b32 v26, acc68                      // 
v_accvgpr_read_b32 v30, acc84                      // 
v_accvgpr_read_b32 v34, acc100                     // 
v_accvgpr_read_b32 v38, acc116                     // 
v_accvgpr_read_b32 v11, acc5                       // 
v_accvgpr_read_b32 v15, acc21                      // 
v_accvgpr_read_b32 v19, acc37                      // 
v_accvgpr_read_b32 v23, acc53                      // 
v_accvgpr_read_b32 v27, acc69                      // 
v_accvgpr_read_b32 v31, acc85                      // 
v_accvgpr_read_b32 v35, acc101                     // 
v_accvgpr_read_b32 v39, acc117                     // 
s_nop 1                                            // v_accvgpr read vgpr after write vgpr: 2 wait states
ds_bpermute_b32 v10, v6, v10, offset:128           // permute edge values
ds_bpermute_b32 v14, v6, v14, offset:128           // permute edge values
ds_bpermute_b32 v18, v6, v18, offset:128           // permute edge values
ds_bpermute_b32 v22, v6, v22, offset:128           // permute edge values
ds_bpermute_b32 v26, v6, v26, offset:128           // permute edge values
ds_bpermute_b32 v30, v6, v30, offset:128           // permute edge values
ds_bpermute_b32 v34, v6, v34, offset:128           // permute edge values
ds_bpermute_b32 v38, v6, v38, offset:128           // permute edge values
ds_bpermute_b32 v11, v6, v11, offset:128           // permute edge values
ds_bpermute_b32 v15, v6, v15, offset:128           // permute edge values
ds_bpermute_b32 v19, v6, v19, offset:128           // permute edge values
ds_bpermute_b32 v23, v6, v23, offset:128           // permute edge values
ds_bpermute_b32 v27, v6, v27, offset:128           // permute edge values
ds_bpermute_b32 v31, v6, v31, offset:128           // permute edge values
ds_bpermute_b32 v35, v6, v35, offset:128           // permute edge values
ds_bpermute_b32 v39, v6, v39, offset:128           // permute edge values
s_waitcnt lgkmcnt(0)                               // wait for swizzle operation
s_mov_b32 s54, 0                                   // which thread need to shfit in this block
_v_cmpx_eq_u32 s[54:55], v7, s54                   // is thread in edge glvw region
s_nop 3                                            // wait for exec mask
v_accvgpr_write_b32 acc4, v8                       // 
v_accvgpr_write_b32 acc20, v12                     // 
v_accvgpr_write_b32 acc36, v16                     // 
v_accvgpr_write_b32 acc52, v20                     // 
v_accvgpr_write_b32 acc68, v24                     // 
v_accvgpr_write_b32 acc84, v28                     // 
v_accvgpr_write_b32 acc100, v32                    // 
v_accvgpr_write_b32 acc116, v36                    // 
v_accvgpr_write_b32 acc5, v9                       // 
v_accvgpr_write_b32 acc21, v13                     // 
v_accvgpr_write_b32 acc37, v17                     // 
v_accvgpr_write_b32 acc53, v21                     // 
v_accvgpr_write_b32 acc69, v25                     // 
v_accvgpr_write_b32 acc85, v29                     // 
v_accvgpr_write_b32 acc101, v33                    // 
v_accvgpr_write_b32 acc117, v37                    // 
v_accvgpr_write_b32 acc6, v10                      // 
v_accvgpr_write_b32 acc22, v14                     // 
v_accvgpr_write_b32 acc38, v18                     // 
v_accvgpr_write_b32 acc54, v22                     // 
v_accvgpr_write_b32 acc70, v26                     // 
v_accvgpr_write_b32 acc86, v30                     // 
v_accvgpr_write_b32 acc102, v34                    // 
v_accvgpr_write_b32 acc118, v38                    // 
v_accvgpr_write_b32 acc7, v11                      // 
v_accvgpr_write_b32 acc23, v15                     // 
v_accvgpr_write_b32 acc39, v19                     // 
v_accvgpr_write_b32 acc55, v23                     // 
v_accvgpr_write_b32 acc71, v27                     // 
v_accvgpr_write_b32 acc87, v31                     // 
v_accvgpr_write_b32 acc103, v35                    // 
v_accvgpr_write_b32 acc119, v39                    // 
s_mov_b64 s[54:55], 0xFFFFFFFFFFFFFFFF             // to restore all threads active
s_or_saveexec_b64 vcc, s[54:55]                    // all threads active
s_nop 3                                            // wait for exec mask
v_accvgpr_read_b32 v8, acc6                        // 
v_accvgpr_read_b32 v12, acc22                      // 
v_accvgpr_read_b32 v16, acc38                      // 
v_accvgpr_read_b32 v20, acc54                      // 
v_accvgpr_read_b32 v24, acc70                      // 
v_accvgpr_read_b32 v28, acc86                      // 
v_accvgpr_read_b32 v32, acc102                     // 
v_accvgpr_read_b32 v36, acc118                     // 
v_accvgpr_read_b32 v9, acc7                        // 
v_accvgpr_read_b32 v13, acc23                      // 
v_accvgpr_read_b32 v17, acc39                      // 
v_accvgpr_read_b32 v21, acc55                      // 
v_accvgpr_read_b32 v25, acc71                      // 
v_accvgpr_read_b32 v29, acc87                      // 
v_accvgpr_read_b32 v33, acc103                     // 
v_accvgpr_read_b32 v37, acc119                     // 
s_nop 1                                            // v_accvgpr read vgpr after write vgpr: 2 wait states
s_mov_b32 s54, 1                                   // which thread need to shfit in this block
_v_cmpx_eq_u32 s[54:55], v7, s54                   // is thread in edge glvw region
s_nop 3                                            // wait for exec mask
v_accvgpr_write_b32 acc4, v8                       // 
v_accvgpr_write_b32 acc20, v12                     // 
v_accvgpr_write_b32 acc36, v16                     // 
v_accvgpr_write_b32 acc52, v20                     // 
v_accvgpr_write_b32 acc68, v24                     // 
v_accvgpr_write_b32 acc84, v28                     // 
v_accvgpr_write_b32 acc100, v32                    // 
v_accvgpr_write_b32 acc116, v36                    // 
v_accvgpr_write_b32 acc5, v9                       // 
v_accvgpr_write_b32 acc21, v13                     // 
v_accvgpr_write_b32 acc37, v17                     // 
v_accvgpr_write_b32 acc53, v21                     // 
v_accvgpr_write_b32 acc69, v25                     // 
v_accvgpr_write_b32 acc85, v29                     // 
v_accvgpr_write_b32 acc101, v33                    // 
v_accvgpr_write_b32 acc117, v37                    // 
s_mov_b64 s[54:55], 0xFFFFFFFFFFFFFFFF             // to restore all threads active
s_or_saveexec_b64 vcc, s[54:55]                    // all threads active
s_nop 3                                            // wait for exec mask
s_branch label_0074                                // done

/******************************************/
/* shift d0 shift=14 glvwblk=1            */
/******************************************/
label_0070:
v_and_b32 v6, 63, v[vgprSerial]                    // permute register between threads
v_lshlrev_b32 v6, 0x2, v6                          // permute register between threads
v_lshrrev_b32 v0, 5, v[vgprSerial]                 // v0 = v[vgprSerial] / 32
v_and_b32 v7, 1, v0                                // v7 = v0 % 2
v_accvgpr_read_b32 v8, acc10                       // 
v_accvgpr_read_b32 v12, acc26                      // 
v_accvgpr_read_b32 v16, acc42                      // 
v_accvgpr_read_b32 v20, acc58                      // 
v_accvgpr_read_b32 v24, acc74                      // 
v_accvgpr_read_b32 v28, acc90                      // 
v_accvgpr_read_b32 v32, acc106                     // 
v_accvgpr_read_b32 v36, acc122                     // 
v_accvgpr_read_b32 v9, acc11                       // 
v_accvgpr_read_b32 v13, acc27                      // 
v_accvgpr_read_b32 v17, acc43                      // 
v_accvgpr_read_b32 v21, acc59                      // 
v_accvgpr_read_b32 v25, acc75                      // 
v_accvgpr_read_b32 v29, acc91                      // 
v_accvgpr_read_b32 v33, acc107                     // 
v_accvgpr_read_b32 v37, acc123                     // 
v_accvgpr_read_b32 v10, acc8                       // 
v_accvgpr_read_b32 v14, acc24                      // 
v_accvgpr_read_b32 v18, acc40                      // 
v_accvgpr_read_b32 v22, acc56                      // 
v_accvgpr_read_b32 v26, acc72                      // 
v_accvgpr_read_b32 v30, acc88                      // 
v_accvgpr_read_b32 v34, acc104                     // 
v_accvgpr_read_b32 v38, acc120                     // 
v_accvgpr_read_b32 v11, acc9                       // 
v_accvgpr_read_b32 v15, acc25                      // 
v_accvgpr_read_b32 v19, acc41                      // 
v_accvgpr_read_b32 v23, acc57                      // 
v_accvgpr_read_b32 v27, acc73                      // 
v_accvgpr_read_b32 v31, acc89                      // 
v_accvgpr_read_b32 v35, acc105                     // 
v_accvgpr_read_b32 v39, acc121                     // 
s_nop 1                                            // v_accvgpr read vgpr after write vgpr: 2 wait states
ds_bpermute_b32 v10, v6, v10, offset:128           // permute edge values
ds_bpermute_b32 v14, v6, v14, offset:128           // permute edge values
	;; [unrolled: 1-line block ×16, first 2 shown]
s_waitcnt lgkmcnt(0)                               // wait for swizzle operation
s_mov_b32 s54, 0                                   // which thread need to shfit in this block
_v_cmpx_eq_u32 s[54:55], v7, s54                   // is thread in edge glvw region
s_nop 3                                            // wait for exec mask
v_accvgpr_write_b32 acc8, v8                       // 
v_accvgpr_write_b32 acc24, v12                     // 
v_accvgpr_write_b32 acc40, v16                     // 
v_accvgpr_write_b32 acc56, v20                     // 
v_accvgpr_write_b32 acc72, v24                     // 
v_accvgpr_write_b32 acc88, v28                     // 
v_accvgpr_write_b32 acc104, v32                    // 
v_accvgpr_write_b32 acc120, v36                    // 
v_accvgpr_write_b32 acc9, v9                       // 
v_accvgpr_write_b32 acc25, v13                     // 
v_accvgpr_write_b32 acc41, v17                     // 
v_accvgpr_write_b32 acc57, v21                     // 
v_accvgpr_write_b32 acc73, v25                     // 
v_accvgpr_write_b32 acc89, v29                     // 
v_accvgpr_write_b32 acc105, v33                    // 
v_accvgpr_write_b32 acc121, v37                    // 
v_accvgpr_write_b32 acc10, v10                     // 
v_accvgpr_write_b32 acc26, v14                     // 
v_accvgpr_write_b32 acc42, v18                     // 
v_accvgpr_write_b32 acc58, v22                     // 
v_accvgpr_write_b32 acc74, v26                     // 
v_accvgpr_write_b32 acc90, v30                     // 
v_accvgpr_write_b32 acc106, v34                    // 
v_accvgpr_write_b32 acc122, v38                    // 
v_accvgpr_write_b32 acc11, v11                     // 
v_accvgpr_write_b32 acc27, v15                     // 
v_accvgpr_write_b32 acc43, v19                     // 
v_accvgpr_write_b32 acc59, v23                     // 
v_accvgpr_write_b32 acc75, v27                     // 
v_accvgpr_write_b32 acc91, v31                     // 
v_accvgpr_write_b32 acc107, v35                    // 
v_accvgpr_write_b32 acc123, v39                    // 
s_mov_b64 s[54:55], 0xFFFFFFFFFFFFFFFF             // to restore all threads active
s_or_saveexec_b64 vcc, s[54:55]                    // all threads active
s_nop 3                                            // wait for exec mask
v_accvgpr_read_b32 v8, acc10                       // 
v_accvgpr_read_b32 v12, acc26                      // 
v_accvgpr_read_b32 v16, acc42                      // 
v_accvgpr_read_b32 v20, acc58                      // 
v_accvgpr_read_b32 v24, acc74                      // 
v_accvgpr_read_b32 v28, acc90                      // 
v_accvgpr_read_b32 v32, acc106                     // 
v_accvgpr_read_b32 v36, acc122                     // 
v_accvgpr_read_b32 v9, acc11                       // 
v_accvgpr_read_b32 v13, acc27                      // 
v_accvgpr_read_b32 v17, acc43                      // 
v_accvgpr_read_b32 v21, acc59                      // 
v_accvgpr_read_b32 v25, acc75                      // 
v_accvgpr_read_b32 v29, acc91                      // 
v_accvgpr_read_b32 v33, acc107                     // 
v_accvgpr_read_b32 v37, acc123                     // 
v_accvgpr_read_b32 v10, acc12                      // 
v_accvgpr_read_b32 v14, acc28                      // 
v_accvgpr_read_b32 v18, acc44                      // 
v_accvgpr_read_b32 v22, acc60                      // 
v_accvgpr_read_b32 v26, acc76                      // 
v_accvgpr_read_b32 v30, acc92                      // 
v_accvgpr_read_b32 v34, acc108                     // 
v_accvgpr_read_b32 v38, acc124                     // 
v_accvgpr_read_b32 v11, acc13                      // 
v_accvgpr_read_b32 v15, acc29                      // 
v_accvgpr_read_b32 v19, acc45                      // 
v_accvgpr_read_b32 v23, acc61                      // 
v_accvgpr_read_b32 v27, acc77                      // 
v_accvgpr_read_b32 v31, acc93                      // 
v_accvgpr_read_b32 v35, acc109                     // 
v_accvgpr_read_b32 v39, acc125                     // 
s_nop 1                                            // v_accvgpr read vgpr after write vgpr: 2 wait states
ds_bpermute_b32 v10, v6, v10, offset:128           // permute edge values
ds_bpermute_b32 v14, v6, v14, offset:128           // permute edge values
ds_bpermute_b32 v18, v6, v18, offset:128           // permute edge values
ds_bpermute_b32 v22, v6, v22, offset:128           // permute edge values
ds_bpermute_b32 v26, v6, v26, offset:128           // permute edge values
ds_bpermute_b32 v30, v6, v30, offset:128           // permute edge values
ds_bpermute_b32 v34, v6, v34, offset:128           // permute edge values
ds_bpermute_b32 v38, v6, v38, offset:128           // permute edge values
ds_bpermute_b32 v11, v6, v11, offset:128           // permute edge values
ds_bpermute_b32 v15, v6, v15, offset:128           // permute edge values
ds_bpermute_b32 v19, v6, v19, offset:128           // permute edge values
ds_bpermute_b32 v23, v6, v23, offset:128           // permute edge values
ds_bpermute_b32 v27, v6, v27, offset:128           // permute edge values
ds_bpermute_b32 v31, v6, v31, offset:128           // permute edge values
ds_bpermute_b32 v35, v6, v35, offset:128           // permute edge values
ds_bpermute_b32 v39, v6, v39, offset:128           // permute edge values
s_waitcnt lgkmcnt(0)                               // wait for swizzle operation
s_mov_b32 s54, 1                                   // which thread need to shfit in this block
_v_cmpx_eq_u32 s[54:55], v7, s54                   // is thread in edge glvw region
s_nop 3                                            // wait for exec mask
v_accvgpr_write_b32 acc8, v8                       // 
v_accvgpr_write_b32 acc24, v12                     // 
v_accvgpr_write_b32 acc40, v16                     // 
v_accvgpr_write_b32 acc56, v20                     // 
v_accvgpr_write_b32 acc72, v24                     // 
v_accvgpr_write_b32 acc88, v28                     // 
v_accvgpr_write_b32 acc104, v32                    // 
v_accvgpr_write_b32 acc120, v36                    // 
v_accvgpr_write_b32 acc9, v9                       // 
v_accvgpr_write_b32 acc25, v13                     // 
v_accvgpr_write_b32 acc41, v17                     // 
v_accvgpr_write_b32 acc57, v21                     // 
v_accvgpr_write_b32 acc73, v25                     // 
v_accvgpr_write_b32 acc89, v29                     // 
v_accvgpr_write_b32 acc105, v33                    // 
v_accvgpr_write_b32 acc121, v37                    // 
v_accvgpr_write_b32 acc10, v10                     // 
v_accvgpr_write_b32 acc26, v14                     // 
v_accvgpr_write_b32 acc42, v18                     // 
v_accvgpr_write_b32 acc58, v22                     // 
v_accvgpr_write_b32 acc74, v26                     // 
v_accvgpr_write_b32 acc90, v30                     // 
v_accvgpr_write_b32 acc106, v34                    // 
v_accvgpr_write_b32 acc122, v38                    // 
v_accvgpr_write_b32 acc11, v11                     // 
v_accvgpr_write_b32 acc27, v15                     // 
v_accvgpr_write_b32 acc43, v19                     // 
v_accvgpr_write_b32 acc59, v23                     // 
v_accvgpr_write_b32 acc75, v27                     // 
v_accvgpr_write_b32 acc91, v31                     // 
v_accvgpr_write_b32 acc107, v35                    // 
v_accvgpr_write_b32 acc123, v39                    // 
s_mov_b64 s[54:55], 0xFFFFFFFFFFFFFFFF             // to restore all threads active
s_or_saveexec_b64 vcc, s[54:55]                    // all threads active
s_nop 3                                            // wait for exec mask
v_accvgpr_read_b32 v8, acc14                       // 
v_accvgpr_read_b32 v12, acc30                      // 
v_accvgpr_read_b32 v16, acc46                      // 
v_accvgpr_read_b32 v20, acc62                      // 
v_accvgpr_read_b32 v24, acc78                      // 
v_accvgpr_read_b32 v28, acc94                      // 
v_accvgpr_read_b32 v32, acc110                     // 
v_accvgpr_read_b32 v36, acc126                     // 
v_accvgpr_read_b32 v9, acc15                       // 
v_accvgpr_read_b32 v13, acc31                      // 
v_accvgpr_read_b32 v17, acc47                      // 
v_accvgpr_read_b32 v21, acc63                      // 
v_accvgpr_read_b32 v25, acc79                      // 
v_accvgpr_read_b32 v29, acc95                      // 
v_accvgpr_read_b32 v33, acc111                     // 
v_accvgpr_read_b32 v37, acc127                     // 
v_accvgpr_read_b32 v10, acc12                      // 
v_accvgpr_read_b32 v14, acc28                      // 
v_accvgpr_read_b32 v18, acc44                      // 
v_accvgpr_read_b32 v22, acc60                      // 
v_accvgpr_read_b32 v26, acc76                      // 
v_accvgpr_read_b32 v30, acc92                      // 
v_accvgpr_read_b32 v34, acc108                     // 
v_accvgpr_read_b32 v38, acc124                     // 
v_accvgpr_read_b32 v11, acc13                      // 
v_accvgpr_read_b32 v15, acc29                      // 
v_accvgpr_read_b32 v19, acc45                      // 
v_accvgpr_read_b32 v23, acc61                      // 
v_accvgpr_read_b32 v27, acc77                      // 
v_accvgpr_read_b32 v31, acc93                      // 
v_accvgpr_read_b32 v35, acc109                     // 
v_accvgpr_read_b32 v39, acc125                     // 
s_nop 1                                            // v_accvgpr read vgpr after write vgpr: 2 wait states
ds_bpermute_b32 v10, v6, v10, offset:128           // permute edge values
ds_bpermute_b32 v14, v6, v14, offset:128           // permute edge values
	;; [unrolled: 1-line block ×16, first 2 shown]
s_waitcnt lgkmcnt(0)                               // wait for swizzle operation
s_mov_b32 s54, 0                                   // which thread need to shfit in this block
_v_cmpx_eq_u32 s[54:55], v7, s54                   // is thread in edge glvw region
s_nop 3                                            // wait for exec mask
v_accvgpr_write_b32 acc12, v8                      // 
v_accvgpr_write_b32 acc28, v12                     // 
v_accvgpr_write_b32 acc44, v16                     // 
v_accvgpr_write_b32 acc60, v20                     // 
v_accvgpr_write_b32 acc76, v24                     // 
v_accvgpr_write_b32 acc92, v28                     // 
v_accvgpr_write_b32 acc108, v32                    // 
v_accvgpr_write_b32 acc124, v36                    // 
v_accvgpr_write_b32 acc13, v9                      // 
v_accvgpr_write_b32 acc29, v13                     // 
v_accvgpr_write_b32 acc45, v17                     // 
v_accvgpr_write_b32 acc61, v21                     // 
v_accvgpr_write_b32 acc77, v25                     // 
v_accvgpr_write_b32 acc93, v29                     // 
v_accvgpr_write_b32 acc109, v33                    // 
v_accvgpr_write_b32 acc125, v37                    // 
v_accvgpr_write_b32 acc14, v10                     // 
v_accvgpr_write_b32 acc30, v14                     // 
v_accvgpr_write_b32 acc46, v18                     // 
v_accvgpr_write_b32 acc62, v22                     // 
v_accvgpr_write_b32 acc78, v26                     // 
v_accvgpr_write_b32 acc94, v30                     // 
v_accvgpr_write_b32 acc110, v34                    // 
v_accvgpr_write_b32 acc126, v38                    // 
v_accvgpr_write_b32 acc15, v11                     // 
v_accvgpr_write_b32 acc31, v15                     // 
v_accvgpr_write_b32 acc47, v19                     // 
v_accvgpr_write_b32 acc63, v23                     // 
v_accvgpr_write_b32 acc79, v27                     // 
v_accvgpr_write_b32 acc95, v31                     // 
v_accvgpr_write_b32 acc111, v35                    // 
v_accvgpr_write_b32 acc127, v39                    // 
s_mov_b64 s[54:55], 0xFFFFFFFFFFFFFFFF             // to restore all threads active
s_or_saveexec_b64 vcc, s[54:55]                    // all threads active
s_nop 3                                            // wait for exec mask
v_accvgpr_read_b32 v8, acc14                       // 
v_accvgpr_read_b32 v12, acc30                      // 
v_accvgpr_read_b32 v16, acc46                      // 
v_accvgpr_read_b32 v20, acc62                      // 
v_accvgpr_read_b32 v24, acc78                      // 
v_accvgpr_read_b32 v28, acc94                      // 
v_accvgpr_read_b32 v32, acc110                     // 
v_accvgpr_read_b32 v36, acc126                     // 
v_accvgpr_read_b32 v9, acc15                       // 
v_accvgpr_read_b32 v13, acc31                      // 
v_accvgpr_read_b32 v17, acc47                      // 
v_accvgpr_read_b32 v21, acc63                      // 
v_accvgpr_read_b32 v25, acc79                      // 
v_accvgpr_read_b32 v29, acc95                      // 
v_accvgpr_read_b32 v33, acc111                     // 
v_accvgpr_read_b32 v37, acc127                     // 
s_nop 1                                            // v_accvgpr read vgpr after write vgpr: 2 wait states
s_mov_b32 s54, 1                                   // which thread need to shfit in this block
_v_cmpx_eq_u32 s[54:55], v7, s54                   // is thread in edge glvw region
s_nop 3                                            // wait for exec mask
v_accvgpr_write_b32 acc12, v8                      // 
v_accvgpr_write_b32 acc28, v12                     // 
v_accvgpr_write_b32 acc44, v16                     // 
v_accvgpr_write_b32 acc60, v20                     // 
v_accvgpr_write_b32 acc76, v24                     // 
v_accvgpr_write_b32 acc92, v28                     // 
v_accvgpr_write_b32 acc108, v32                    // 
v_accvgpr_write_b32 acc124, v36                    // 
v_accvgpr_write_b32 acc13, v9                      // 
v_accvgpr_write_b32 acc29, v13                     // 
v_accvgpr_write_b32 acc45, v17                     // 
v_accvgpr_write_b32 acc61, v21                     // 
v_accvgpr_write_b32 acc77, v25                     // 
v_accvgpr_write_b32 acc93, v29                     // 
v_accvgpr_write_b32 acc109, v33                    // 
v_accvgpr_write_b32 acc125, v37                    // 
s_mov_b64 s[54:55], 0xFFFFFFFFFFFFFFFF             // to restore all threads active
s_or_saveexec_b64 vcc, s[54:55]                    // all threads active
s_nop 3                                            // wait for exec mask
s_branch label_0074                                // done

/******************************************/
/* shift d0 shift=15 glvwblk=0            */
/******************************************/
label_0072:
v_and_b32 v6, 63, v[vgprSerial]                    // permute register between threads
v_lshlrev_b32 v6, 0x2, v6                          // permute register between threads
v_lshrrev_b32 v0, 5, v[vgprSerial]                 // v0 = v[vgprSerial] / 32
v_and_b32 v7, 1, v0                                // v7 = v0 % 2
v_accvgpr_read_b32 v8, acc1                        // 
v_accvgpr_read_b32 v12, acc17                      // 
v_accvgpr_read_b32 v16, acc33                      // 
v_accvgpr_read_b32 v20, acc49                      // 
v_accvgpr_read_b32 v24, acc65                      // 
v_accvgpr_read_b32 v28, acc81                      // 
v_accvgpr_read_b32 v32, acc97                      // 
v_accvgpr_read_b32 v36, acc113                     // 
v_accvgpr_read_b32 v9, acc2                        // 
v_accvgpr_read_b32 v13, acc18                      // 
v_accvgpr_read_b32 v17, acc34                      // 
v_accvgpr_read_b32 v21, acc50                      // 
v_accvgpr_read_b32 v25, acc66                      // 
v_accvgpr_read_b32 v29, acc82                      // 
v_accvgpr_read_b32 v33, acc98                      // 
v_accvgpr_read_b32 v37, acc114                     // 
v_accvgpr_read_b32 v10, acc3                       // 
v_accvgpr_read_b32 v14, acc19                      // 
v_accvgpr_read_b32 v18, acc35                      // 
v_accvgpr_read_b32 v22, acc51                      // 
v_accvgpr_read_b32 v26, acc67                      // 
v_accvgpr_read_b32 v30, acc83                      // 
v_accvgpr_read_b32 v34, acc99                      // 
v_accvgpr_read_b32 v38, acc115                     // 
v_accvgpr_read_b32 v11, acc0                       // 
v_accvgpr_read_b32 v15, acc16                      // 
v_accvgpr_read_b32 v19, acc32                      // 
v_accvgpr_read_b32 v23, acc48                      // 
v_accvgpr_read_b32 v27, acc64                      // 
v_accvgpr_read_b32 v31, acc80                      // 
v_accvgpr_read_b32 v35, acc96                      // 
v_accvgpr_read_b32 v39, acc112                     // 
s_nop 1                                            // v_accvgpr read vgpr after write vgpr: 2 wait states
ds_bpermute_b32 v11, v6, v11, offset:128           // permute edge values
ds_bpermute_b32 v15, v6, v15, offset:128           // permute edge values
	;; [unrolled: 1-line block ×8, first 2 shown]
s_waitcnt lgkmcnt(0)                               // wait for swizzle operation
s_mov_b32 s54, 0                                   // which thread need to shfit in this block
_v_cmpx_eq_u32 s[54:55], v7, s54                   // is thread in edge glvw region
s_nop 3                                            // wait for exec mask
v_accvgpr_write_b32 acc0, v8                       // 
v_accvgpr_write_b32 acc16, v12                     // 
v_accvgpr_write_b32 acc32, v16                     // 
v_accvgpr_write_b32 acc48, v20                     // 
v_accvgpr_write_b32 acc64, v24                     // 
v_accvgpr_write_b32 acc80, v28                     // 
v_accvgpr_write_b32 acc96, v32                     // 
v_accvgpr_write_b32 acc112, v36                    // 
v_accvgpr_write_b32 acc1, v9                       // 
v_accvgpr_write_b32 acc17, v13                     // 
v_accvgpr_write_b32 acc33, v17                     // 
v_accvgpr_write_b32 acc49, v21                     // 
v_accvgpr_write_b32 acc65, v25                     // 
v_accvgpr_write_b32 acc81, v29                     // 
v_accvgpr_write_b32 acc97, v33                     // 
v_accvgpr_write_b32 acc113, v37                    // 
v_accvgpr_write_b32 acc2, v10                      // 
v_accvgpr_write_b32 acc18, v14                     // 
v_accvgpr_write_b32 acc34, v18                     // 
v_accvgpr_write_b32 acc50, v22                     // 
v_accvgpr_write_b32 acc66, v26                     // 
v_accvgpr_write_b32 acc82, v30                     // 
v_accvgpr_write_b32 acc98, v34                     // 
v_accvgpr_write_b32 acc114, v38                    // 
v_accvgpr_write_b32 acc3, v11                      // 
v_accvgpr_write_b32 acc19, v15                     // 
v_accvgpr_write_b32 acc35, v19                     // 
v_accvgpr_write_b32 acc51, v23                     // 
v_accvgpr_write_b32 acc67, v27                     // 
v_accvgpr_write_b32 acc83, v31                     // 
v_accvgpr_write_b32 acc99, v35                     // 
v_accvgpr_write_b32 acc115, v39                    // 
s_mov_b64 s[54:55], 0xFFFFFFFFFFFFFFFF             // to restore all threads active
s_or_saveexec_b64 vcc, s[54:55]                    // all threads active
s_nop 3                                            // wait for exec mask
v_accvgpr_read_b32 v8, acc1                        // 
v_accvgpr_read_b32 v12, acc17                      // 
v_accvgpr_read_b32 v16, acc33                      // 
v_accvgpr_read_b32 v20, acc49                      // 
v_accvgpr_read_b32 v24, acc65                      // 
v_accvgpr_read_b32 v28, acc81                      // 
v_accvgpr_read_b32 v32, acc97                      // 
v_accvgpr_read_b32 v36, acc113                     // 
v_accvgpr_read_b32 v9, acc2                        // 
v_accvgpr_read_b32 v13, acc18                      // 
v_accvgpr_read_b32 v17, acc34                      // 
v_accvgpr_read_b32 v21, acc50                      // 
v_accvgpr_read_b32 v25, acc66                      // 
v_accvgpr_read_b32 v29, acc82                      // 
v_accvgpr_read_b32 v33, acc98                      // 
v_accvgpr_read_b32 v37, acc114                     // 
v_accvgpr_read_b32 v10, acc3                       // 
v_accvgpr_read_b32 v14, acc19                      // 
v_accvgpr_read_b32 v18, acc35                      // 
v_accvgpr_read_b32 v22, acc51                      // 
v_accvgpr_read_b32 v26, acc67                      // 
v_accvgpr_read_b32 v30, acc83                      // 
v_accvgpr_read_b32 v34, acc99                      // 
v_accvgpr_read_b32 v38, acc115                     // 
v_accvgpr_read_b32 v11, acc4                       // 
v_accvgpr_read_b32 v15, acc20                      // 
v_accvgpr_read_b32 v19, acc36                      // 
v_accvgpr_read_b32 v23, acc52                      // 
v_accvgpr_read_b32 v27, acc68                      // 
v_accvgpr_read_b32 v31, acc84                      // 
v_accvgpr_read_b32 v35, acc100                     // 
v_accvgpr_read_b32 v39, acc116                     // 
s_nop 1                                            // v_accvgpr read vgpr after write vgpr: 2 wait states
ds_bpermute_b32 v11, v6, v11, offset:128           // permute edge values
ds_bpermute_b32 v15, v6, v15, offset:128           // permute edge values
	;; [unrolled: 1-line block ×8, first 2 shown]
s_waitcnt lgkmcnt(0)                               // wait for swizzle operation
s_mov_b32 s54, 1                                   // which thread need to shfit in this block
_v_cmpx_eq_u32 s[54:55], v7, s54                   // is thread in edge glvw region
s_nop 3                                            // wait for exec mask
v_accvgpr_write_b32 acc0, v8                       // 
v_accvgpr_write_b32 acc16, v12                     // 
v_accvgpr_write_b32 acc32, v16                     // 
v_accvgpr_write_b32 acc48, v20                     // 
v_accvgpr_write_b32 acc64, v24                     // 
v_accvgpr_write_b32 acc80, v28                     // 
v_accvgpr_write_b32 acc96, v32                     // 
v_accvgpr_write_b32 acc112, v36                    // 
v_accvgpr_write_b32 acc1, v9                       // 
v_accvgpr_write_b32 acc17, v13                     // 
v_accvgpr_write_b32 acc33, v17                     // 
v_accvgpr_write_b32 acc49, v21                     // 
v_accvgpr_write_b32 acc65, v25                     // 
v_accvgpr_write_b32 acc81, v29                     // 
v_accvgpr_write_b32 acc97, v33                     // 
v_accvgpr_write_b32 acc113, v37                    // 
v_accvgpr_write_b32 acc2, v10                      // 
v_accvgpr_write_b32 acc18, v14                     // 
v_accvgpr_write_b32 acc34, v18                     // 
v_accvgpr_write_b32 acc50, v22                     // 
v_accvgpr_write_b32 acc66, v26                     // 
v_accvgpr_write_b32 acc82, v30                     // 
v_accvgpr_write_b32 acc98, v34                     // 
v_accvgpr_write_b32 acc114, v38                    // 
v_accvgpr_write_b32 acc3, v11                      // 
v_accvgpr_write_b32 acc19, v15                     // 
v_accvgpr_write_b32 acc35, v19                     // 
v_accvgpr_write_b32 acc51, v23                     // 
v_accvgpr_write_b32 acc67, v27                     // 
v_accvgpr_write_b32 acc83, v31                     // 
v_accvgpr_write_b32 acc99, v35                     // 
v_accvgpr_write_b32 acc115, v39                    // 
s_mov_b64 s[54:55], 0xFFFFFFFFFFFFFFFF             // to restore all threads active
s_or_saveexec_b64 vcc, s[54:55]                    // all threads active
s_nop 3                                            // wait for exec mask
v_accvgpr_read_b32 v8, acc5                        // 
v_accvgpr_read_b32 v12, acc21                      // 
v_accvgpr_read_b32 v16, acc37                      // 
v_accvgpr_read_b32 v20, acc53                      // 
v_accvgpr_read_b32 v24, acc69                      // 
v_accvgpr_read_b32 v28, acc85                      // 
v_accvgpr_read_b32 v32, acc101                     // 
v_accvgpr_read_b32 v36, acc117                     // 
v_accvgpr_read_b32 v9, acc6                        // 
v_accvgpr_read_b32 v13, acc22                      // 
v_accvgpr_read_b32 v17, acc38                      // 
v_accvgpr_read_b32 v21, acc54                      // 
v_accvgpr_read_b32 v25, acc70                      // 
v_accvgpr_read_b32 v29, acc86                      // 
v_accvgpr_read_b32 v33, acc102                     // 
v_accvgpr_read_b32 v37, acc118                     // 
v_accvgpr_read_b32 v10, acc7                       // 
v_accvgpr_read_b32 v14, acc23                      // 
v_accvgpr_read_b32 v18, acc39                      // 
v_accvgpr_read_b32 v22, acc55                      // 
v_accvgpr_read_b32 v26, acc71                      // 
v_accvgpr_read_b32 v30, acc87                      // 
v_accvgpr_read_b32 v34, acc103                     // 
v_accvgpr_read_b32 v38, acc119                     // 
v_accvgpr_read_b32 v11, acc4                       // 
v_accvgpr_read_b32 v15, acc20                      // 
v_accvgpr_read_b32 v19, acc36                      // 
v_accvgpr_read_b32 v23, acc52                      // 
v_accvgpr_read_b32 v27, acc68                      // 
v_accvgpr_read_b32 v31, acc84                      // 
v_accvgpr_read_b32 v35, acc100                     // 
v_accvgpr_read_b32 v39, acc116                     // 
s_nop 1                                            // v_accvgpr read vgpr after write vgpr: 2 wait states
ds_bpermute_b32 v11, v6, v11, offset:128           // permute edge values
ds_bpermute_b32 v15, v6, v15, offset:128           // permute edge values
	;; [unrolled: 1-line block ×8, first 2 shown]
s_waitcnt lgkmcnt(0)                               // wait for swizzle operation
s_mov_b32 s54, 0                                   // which thread need to shfit in this block
_v_cmpx_eq_u32 s[54:55], v7, s54                   // is thread in edge glvw region
s_nop 3                                            // wait for exec mask
v_accvgpr_write_b32 acc4, v8                       // 
v_accvgpr_write_b32 acc20, v12                     // 
v_accvgpr_write_b32 acc36, v16                     // 
v_accvgpr_write_b32 acc52, v20                     // 
v_accvgpr_write_b32 acc68, v24                     // 
v_accvgpr_write_b32 acc84, v28                     // 
v_accvgpr_write_b32 acc100, v32                    // 
v_accvgpr_write_b32 acc116, v36                    // 
v_accvgpr_write_b32 acc5, v9                       // 
v_accvgpr_write_b32 acc21, v13                     // 
v_accvgpr_write_b32 acc37, v17                     // 
v_accvgpr_write_b32 acc53, v21                     // 
v_accvgpr_write_b32 acc69, v25                     // 
v_accvgpr_write_b32 acc85, v29                     // 
v_accvgpr_write_b32 acc101, v33                    // 
v_accvgpr_write_b32 acc117, v37                    // 
v_accvgpr_write_b32 acc6, v10                      // 
v_accvgpr_write_b32 acc22, v14                     // 
v_accvgpr_write_b32 acc38, v18                     // 
v_accvgpr_write_b32 acc54, v22                     // 
v_accvgpr_write_b32 acc70, v26                     // 
v_accvgpr_write_b32 acc86, v30                     // 
v_accvgpr_write_b32 acc102, v34                    // 
v_accvgpr_write_b32 acc118, v38                    // 
v_accvgpr_write_b32 acc7, v11                      // 
v_accvgpr_write_b32 acc23, v15                     // 
v_accvgpr_write_b32 acc39, v19                     // 
v_accvgpr_write_b32 acc55, v23                     // 
v_accvgpr_write_b32 acc71, v27                     // 
v_accvgpr_write_b32 acc87, v31                     // 
v_accvgpr_write_b32 acc103, v35                    // 
v_accvgpr_write_b32 acc119, v39                    // 
s_mov_b64 s[54:55], 0xFFFFFFFFFFFFFFFF             // to restore all threads active
s_or_saveexec_b64 vcc, s[54:55]                    // all threads active
s_nop 3                                            // wait for exec mask
v_accvgpr_read_b32 v8, acc5                        // 
v_accvgpr_read_b32 v12, acc21                      // 
v_accvgpr_read_b32 v16, acc37                      // 
v_accvgpr_read_b32 v20, acc53                      // 
v_accvgpr_read_b32 v24, acc69                      // 
v_accvgpr_read_b32 v28, acc85                      // 
v_accvgpr_read_b32 v32, acc101                     // 
v_accvgpr_read_b32 v36, acc117                     // 
v_accvgpr_read_b32 v9, acc6                        // 
v_accvgpr_read_b32 v13, acc22                      // 
v_accvgpr_read_b32 v17, acc38                      // 
v_accvgpr_read_b32 v21, acc54                      // 
v_accvgpr_read_b32 v25, acc70                      // 
v_accvgpr_read_b32 v29, acc86                      // 
v_accvgpr_read_b32 v33, acc102                     // 
v_accvgpr_read_b32 v37, acc118                     // 
v_accvgpr_read_b32 v10, acc7                       // 
v_accvgpr_read_b32 v14, acc23                      // 
v_accvgpr_read_b32 v18, acc39                      // 
v_accvgpr_read_b32 v22, acc55                      // 
v_accvgpr_read_b32 v26, acc71                      // 
v_accvgpr_read_b32 v30, acc87                      // 
v_accvgpr_read_b32 v34, acc103                     // 
v_accvgpr_read_b32 v38, acc119                     // 
s_nop 1                                            // v_accvgpr read vgpr after write vgpr: 2 wait states
s_mov_b32 s54, 1                                   // which thread need to shfit in this block
_v_cmpx_eq_u32 s[54:55], v7, s54                   // is thread in edge glvw region
s_nop 3                                            // wait for exec mask
v_accvgpr_write_b32 acc4, v8                       // 
v_accvgpr_write_b32 acc20, v12                     // 
v_accvgpr_write_b32 acc36, v16                     // 
v_accvgpr_write_b32 acc52, v20                     // 
v_accvgpr_write_b32 acc68, v24                     // 
v_accvgpr_write_b32 acc84, v28                     // 
v_accvgpr_write_b32 acc100, v32                    // 
v_accvgpr_write_b32 acc116, v36                    // 
v_accvgpr_write_b32 acc5, v9                       // 
v_accvgpr_write_b32 acc21, v13                     // 
v_accvgpr_write_b32 acc37, v17                     // 
v_accvgpr_write_b32 acc53, v21                     // 
v_accvgpr_write_b32 acc69, v25                     // 
v_accvgpr_write_b32 acc85, v29                     // 
v_accvgpr_write_b32 acc101, v33                    // 
v_accvgpr_write_b32 acc117, v37                    // 
v_accvgpr_write_b32 acc6, v10                      // 
v_accvgpr_write_b32 acc22, v14                     // 
v_accvgpr_write_b32 acc38, v18                     // 
v_accvgpr_write_b32 acc54, v22                     // 
v_accvgpr_write_b32 acc70, v26                     // 
v_accvgpr_write_b32 acc86, v30                     // 
v_accvgpr_write_b32 acc102, v34                    // 
v_accvgpr_write_b32 acc118, v38                    // 
s_mov_b64 s[54:55], 0xFFFFFFFFFFFFFFFF             // to restore all threads active
s_or_saveexec_b64 vcc, s[54:55]                    // all threads active
s_nop 3                                            // wait for exec mask
s_branch label_0074                                // done

/******************************************/
/* shift d0 shift=15 glvwblk=1            */
/******************************************/
label_0073:
v_and_b32 v6, 63, v[vgprSerial]                    // permute register between threads
v_lshlrev_b32 v6, 0x2, v6                          // permute register between threads
v_lshrrev_b32 v0, 5, v[vgprSerial]                 // v0 = v[vgprSerial] / 32
v_and_b32 v7, 1, v0                                // v7 = v0 % 2
v_accvgpr_read_b32 v8, acc9                        // 
v_accvgpr_read_b32 v12, acc25                      // 
v_accvgpr_read_b32 v16, acc41                      // 
v_accvgpr_read_b32 v20, acc57                      // 
v_accvgpr_read_b32 v24, acc73                      // 
v_accvgpr_read_b32 v28, acc89                      // 
v_accvgpr_read_b32 v32, acc105                     // 
v_accvgpr_read_b32 v36, acc121                     // 
v_accvgpr_read_b32 v9, acc10                       // 
v_accvgpr_read_b32 v13, acc26                      // 
v_accvgpr_read_b32 v17, acc42                      // 
v_accvgpr_read_b32 v21, acc58                      // 
v_accvgpr_read_b32 v25, acc74                      // 
v_accvgpr_read_b32 v29, acc90                      // 
v_accvgpr_read_b32 v33, acc106                     // 
v_accvgpr_read_b32 v37, acc122                     // 
v_accvgpr_read_b32 v10, acc11                      // 
v_accvgpr_read_b32 v14, acc27                      // 
v_accvgpr_read_b32 v18, acc43                      // 
v_accvgpr_read_b32 v22, acc59                      // 
v_accvgpr_read_b32 v26, acc75                      // 
v_accvgpr_read_b32 v30, acc91                      // 
v_accvgpr_read_b32 v34, acc107                     // 
v_accvgpr_read_b32 v38, acc123                     // 
v_accvgpr_read_b32 v11, acc8                       // 
v_accvgpr_read_b32 v15, acc24                      // 
v_accvgpr_read_b32 v19, acc40                      // 
v_accvgpr_read_b32 v23, acc56                      // 
v_accvgpr_read_b32 v27, acc72                      // 
v_accvgpr_read_b32 v31, acc88                      // 
v_accvgpr_read_b32 v35, acc104                     // 
v_accvgpr_read_b32 v39, acc120                     // 
s_nop 1                                            // v_accvgpr read vgpr after write vgpr: 2 wait states
ds_bpermute_b32 v11, v6, v11, offset:128           // permute edge values
ds_bpermute_b32 v15, v6, v15, offset:128           // permute edge values
	;; [unrolled: 1-line block ×8, first 2 shown]
s_waitcnt lgkmcnt(0)                               // wait for swizzle operation
s_mov_b32 s54, 0                                   // which thread need to shfit in this block
_v_cmpx_eq_u32 s[54:55], v7, s54                   // is thread in edge glvw region
s_nop 3                                            // wait for exec mask
v_accvgpr_write_b32 acc8, v8                       // 
v_accvgpr_write_b32 acc24, v12                     // 
v_accvgpr_write_b32 acc40, v16                     // 
v_accvgpr_write_b32 acc56, v20                     // 
v_accvgpr_write_b32 acc72, v24                     // 
v_accvgpr_write_b32 acc88, v28                     // 
v_accvgpr_write_b32 acc104, v32                    // 
v_accvgpr_write_b32 acc120, v36                    // 
v_accvgpr_write_b32 acc9, v9                       // 
v_accvgpr_write_b32 acc25, v13                     // 
v_accvgpr_write_b32 acc41, v17                     // 
v_accvgpr_write_b32 acc57, v21                     // 
v_accvgpr_write_b32 acc73, v25                     // 
v_accvgpr_write_b32 acc89, v29                     // 
v_accvgpr_write_b32 acc105, v33                    // 
v_accvgpr_write_b32 acc121, v37                    // 
v_accvgpr_write_b32 acc10, v10                     // 
v_accvgpr_write_b32 acc26, v14                     // 
v_accvgpr_write_b32 acc42, v18                     // 
v_accvgpr_write_b32 acc58, v22                     // 
v_accvgpr_write_b32 acc74, v26                     // 
v_accvgpr_write_b32 acc90, v30                     // 
v_accvgpr_write_b32 acc106, v34                    // 
v_accvgpr_write_b32 acc122, v38                    // 
v_accvgpr_write_b32 acc11, v11                     // 
v_accvgpr_write_b32 acc27, v15                     // 
v_accvgpr_write_b32 acc43, v19                     // 
v_accvgpr_write_b32 acc59, v23                     // 
v_accvgpr_write_b32 acc75, v27                     // 
v_accvgpr_write_b32 acc91, v31                     // 
v_accvgpr_write_b32 acc107, v35                    // 
v_accvgpr_write_b32 acc123, v39                    // 
s_mov_b64 s[54:55], 0xFFFFFFFFFFFFFFFF             // to restore all threads active
s_or_saveexec_b64 vcc, s[54:55]                    // all threads active
s_nop 3                                            // wait for exec mask
v_accvgpr_read_b32 v8, acc9                        // 
v_accvgpr_read_b32 v12, acc25                      // 
v_accvgpr_read_b32 v16, acc41                      // 
v_accvgpr_read_b32 v20, acc57                      // 
v_accvgpr_read_b32 v24, acc73                      // 
v_accvgpr_read_b32 v28, acc89                      // 
v_accvgpr_read_b32 v32, acc105                     // 
v_accvgpr_read_b32 v36, acc121                     // 
v_accvgpr_read_b32 v9, acc10                       // 
v_accvgpr_read_b32 v13, acc26                      // 
v_accvgpr_read_b32 v17, acc42                      // 
v_accvgpr_read_b32 v21, acc58                      // 
v_accvgpr_read_b32 v25, acc74                      // 
v_accvgpr_read_b32 v29, acc90                      // 
v_accvgpr_read_b32 v33, acc106                     // 
v_accvgpr_read_b32 v37, acc122                     // 
v_accvgpr_read_b32 v10, acc11                      // 
v_accvgpr_read_b32 v14, acc27                      // 
v_accvgpr_read_b32 v18, acc43                      // 
v_accvgpr_read_b32 v22, acc59                      // 
v_accvgpr_read_b32 v26, acc75                      // 
v_accvgpr_read_b32 v30, acc91                      // 
v_accvgpr_read_b32 v34, acc107                     // 
v_accvgpr_read_b32 v38, acc123                     // 
v_accvgpr_read_b32 v11, acc12                      // 
v_accvgpr_read_b32 v15, acc28                      // 
v_accvgpr_read_b32 v19, acc44                      // 
v_accvgpr_read_b32 v23, acc60                      // 
v_accvgpr_read_b32 v27, acc76                      // 
v_accvgpr_read_b32 v31, acc92                      // 
v_accvgpr_read_b32 v35, acc108                     // 
v_accvgpr_read_b32 v39, acc124                     // 
s_nop 1                                            // v_accvgpr read vgpr after write vgpr: 2 wait states
ds_bpermute_b32 v11, v6, v11, offset:128           // permute edge values
ds_bpermute_b32 v15, v6, v15, offset:128           // permute edge values
	;; [unrolled: 1-line block ×8, first 2 shown]
s_waitcnt lgkmcnt(0)                               // wait for swizzle operation
s_mov_b32 s54, 1                                   // which thread need to shfit in this block
_v_cmpx_eq_u32 s[54:55], v7, s54                   // is thread in edge glvw region
s_nop 3                                            // wait for exec mask
v_accvgpr_write_b32 acc8, v8                       // 
v_accvgpr_write_b32 acc24, v12                     // 
v_accvgpr_write_b32 acc40, v16                     // 
v_accvgpr_write_b32 acc56, v20                     // 
v_accvgpr_write_b32 acc72, v24                     // 
v_accvgpr_write_b32 acc88, v28                     // 
v_accvgpr_write_b32 acc104, v32                    // 
v_accvgpr_write_b32 acc120, v36                    // 
v_accvgpr_write_b32 acc9, v9                       // 
v_accvgpr_write_b32 acc25, v13                     // 
v_accvgpr_write_b32 acc41, v17                     // 
v_accvgpr_write_b32 acc57, v21                     // 
v_accvgpr_write_b32 acc73, v25                     // 
v_accvgpr_write_b32 acc89, v29                     // 
v_accvgpr_write_b32 acc105, v33                    // 
v_accvgpr_write_b32 acc121, v37                    // 
v_accvgpr_write_b32 acc10, v10                     // 
v_accvgpr_write_b32 acc26, v14                     // 
v_accvgpr_write_b32 acc42, v18                     // 
v_accvgpr_write_b32 acc58, v22                     // 
v_accvgpr_write_b32 acc74, v26                     // 
v_accvgpr_write_b32 acc90, v30                     // 
v_accvgpr_write_b32 acc106, v34                    // 
v_accvgpr_write_b32 acc122, v38                    // 
v_accvgpr_write_b32 acc11, v11                     // 
v_accvgpr_write_b32 acc27, v15                     // 
v_accvgpr_write_b32 acc43, v19                     // 
v_accvgpr_write_b32 acc59, v23                     // 
v_accvgpr_write_b32 acc75, v27                     // 
v_accvgpr_write_b32 acc91, v31                     // 
v_accvgpr_write_b32 acc107, v35                    // 
v_accvgpr_write_b32 acc123, v39                    // 
s_mov_b64 s[54:55], 0xFFFFFFFFFFFFFFFF             // to restore all threads active
s_or_saveexec_b64 vcc, s[54:55]                    // all threads active
s_nop 3                                            // wait for exec mask
v_accvgpr_read_b32 v8, acc13                       // 
v_accvgpr_read_b32 v12, acc29                      // 
v_accvgpr_read_b32 v16, acc45                      // 
v_accvgpr_read_b32 v20, acc61                      // 
v_accvgpr_read_b32 v24, acc77                      // 
v_accvgpr_read_b32 v28, acc93                      // 
v_accvgpr_read_b32 v32, acc109                     // 
v_accvgpr_read_b32 v36, acc125                     // 
v_accvgpr_read_b32 v9, acc14                       // 
v_accvgpr_read_b32 v13, acc30                      // 
v_accvgpr_read_b32 v17, acc46                      // 
v_accvgpr_read_b32 v21, acc62                      // 
v_accvgpr_read_b32 v25, acc78                      // 
v_accvgpr_read_b32 v29, acc94                      // 
v_accvgpr_read_b32 v33, acc110                     // 
v_accvgpr_read_b32 v37, acc126                     // 
v_accvgpr_read_b32 v10, acc15                      // 
v_accvgpr_read_b32 v14, acc31                      // 
v_accvgpr_read_b32 v18, acc47                      // 
v_accvgpr_read_b32 v22, acc63                      // 
v_accvgpr_read_b32 v26, acc79                      // 
v_accvgpr_read_b32 v30, acc95                      // 
v_accvgpr_read_b32 v34, acc111                     // 
v_accvgpr_read_b32 v38, acc127                     // 
v_accvgpr_read_b32 v11, acc12                      // 
v_accvgpr_read_b32 v15, acc28                      // 
v_accvgpr_read_b32 v19, acc44                      // 
v_accvgpr_read_b32 v23, acc60                      // 
v_accvgpr_read_b32 v27, acc76                      // 
v_accvgpr_read_b32 v31, acc92                      // 
v_accvgpr_read_b32 v35, acc108                     // 
v_accvgpr_read_b32 v39, acc124                     // 
s_nop 1                                            // v_accvgpr read vgpr after write vgpr: 2 wait states
ds_bpermute_b32 v11, v6, v11, offset:128           // permute edge values
ds_bpermute_b32 v15, v6, v15, offset:128           // permute edge values
	;; [unrolled: 1-line block ×8, first 2 shown]
s_waitcnt lgkmcnt(0)                               // wait for swizzle operation
s_mov_b32 s54, 0                                   // which thread need to shfit in this block
_v_cmpx_eq_u32 s[54:55], v7, s54                   // is thread in edge glvw region
s_nop 3                                            // wait for exec mask
v_accvgpr_write_b32 acc12, v8                      // 
v_accvgpr_write_b32 acc28, v12                     // 
v_accvgpr_write_b32 acc44, v16                     // 
v_accvgpr_write_b32 acc60, v20                     // 
v_accvgpr_write_b32 acc76, v24                     // 
v_accvgpr_write_b32 acc92, v28                     // 
v_accvgpr_write_b32 acc108, v32                    // 
v_accvgpr_write_b32 acc124, v36                    // 
v_accvgpr_write_b32 acc13, v9                      // 
v_accvgpr_write_b32 acc29, v13                     // 
v_accvgpr_write_b32 acc45, v17                     // 
v_accvgpr_write_b32 acc61, v21                     // 
v_accvgpr_write_b32 acc77, v25                     // 
v_accvgpr_write_b32 acc93, v29                     // 
v_accvgpr_write_b32 acc109, v33                    // 
v_accvgpr_write_b32 acc125, v37                    // 
v_accvgpr_write_b32 acc14, v10                     // 
v_accvgpr_write_b32 acc30, v14                     // 
v_accvgpr_write_b32 acc46, v18                     // 
v_accvgpr_write_b32 acc62, v22                     // 
v_accvgpr_write_b32 acc78, v26                     // 
v_accvgpr_write_b32 acc94, v30                     // 
v_accvgpr_write_b32 acc110, v34                    // 
v_accvgpr_write_b32 acc126, v38                    // 
v_accvgpr_write_b32 acc15, v11                     // 
v_accvgpr_write_b32 acc31, v15                     // 
v_accvgpr_write_b32 acc47, v19                     // 
v_accvgpr_write_b32 acc63, v23                     // 
v_accvgpr_write_b32 acc79, v27                     // 
v_accvgpr_write_b32 acc95, v31                     // 
v_accvgpr_write_b32 acc111, v35                    // 
v_accvgpr_write_b32 acc127, v39                    // 
s_mov_b64 s[54:55], 0xFFFFFFFFFFFFFFFF             // to restore all threads active
s_or_saveexec_b64 vcc, s[54:55]                    // all threads active
s_nop 3                                            // wait for exec mask
v_accvgpr_read_b32 v8, acc13                       // 
v_accvgpr_read_b32 v12, acc29                      // 
v_accvgpr_read_b32 v16, acc45                      // 
v_accvgpr_read_b32 v20, acc61                      // 
v_accvgpr_read_b32 v24, acc77                      // 
v_accvgpr_read_b32 v28, acc93                      // 
v_accvgpr_read_b32 v32, acc109                     // 
v_accvgpr_read_b32 v36, acc125                     // 
v_accvgpr_read_b32 v9, acc14                       // 
v_accvgpr_read_b32 v13, acc30                      // 
v_accvgpr_read_b32 v17, acc46                      // 
v_accvgpr_read_b32 v21, acc62                      // 
v_accvgpr_read_b32 v25, acc78                      // 
v_accvgpr_read_b32 v29, acc94                      // 
v_accvgpr_read_b32 v33, acc110                     // 
v_accvgpr_read_b32 v37, acc126                     // 
v_accvgpr_read_b32 v10, acc15                      // 
v_accvgpr_read_b32 v14, acc31                      // 
v_accvgpr_read_b32 v18, acc47                      // 
v_accvgpr_read_b32 v22, acc63                      // 
v_accvgpr_read_b32 v26, acc79                      // 
v_accvgpr_read_b32 v30, acc95                      // 
v_accvgpr_read_b32 v34, acc111                     // 
v_accvgpr_read_b32 v38, acc127                     // 
s_nop 1                                            // v_accvgpr read vgpr after write vgpr: 2 wait states
s_mov_b32 s54, 1                                   // which thread need to shfit in this block
_v_cmpx_eq_u32 s[54:55], v7, s54                   // is thread in edge glvw region
s_nop 3                                            // wait for exec mask
v_accvgpr_write_b32 acc12, v8                      // 
v_accvgpr_write_b32 acc28, v12                     // 
v_accvgpr_write_b32 acc44, v16                     // 
v_accvgpr_write_b32 acc60, v20                     // 
v_accvgpr_write_b32 acc76, v24                     // 
v_accvgpr_write_b32 acc92, v28                     // 
v_accvgpr_write_b32 acc108, v32                    // 
v_accvgpr_write_b32 acc124, v36                    // 
v_accvgpr_write_b32 acc13, v9                      // 
v_accvgpr_write_b32 acc29, v13                     // 
v_accvgpr_write_b32 acc45, v17                     // 
v_accvgpr_write_b32 acc61, v21                     // 
v_accvgpr_write_b32 acc77, v25                     // 
v_accvgpr_write_b32 acc93, v29                     // 
v_accvgpr_write_b32 acc109, v33                    // 
v_accvgpr_write_b32 acc125, v37                    // 
v_accvgpr_write_b32 acc14, v10                     // 
v_accvgpr_write_b32 acc30, v14                     // 
v_accvgpr_write_b32 acc46, v18                     // 
v_accvgpr_write_b32 acc62, v22                     // 
v_accvgpr_write_b32 acc78, v26                     // 
v_accvgpr_write_b32 acc94, v30                     // 
v_accvgpr_write_b32 acc110, v34                    // 
v_accvgpr_write_b32 acc126, v38                    // 
s_mov_b64 s[54:55], 0xFFFFFFFFFFFFFFFF             // to restore all threads active
s_or_saveexec_b64 vcc, s[54:55]                    // all threads active
s_nop 3                                            // wait for exec mask
s_branch label_0074                                // done
label_0074: // end shift0



/* not-LocalSplitU: global write indices */

/* computeStoreVgprs */
v_lshrrev_b32 v4, 6, v[vgprSerial]                 // v4 = v[vgprSerial] / 64
v_lshrrev_b32 v1, 2, v4                            // v1 = v4 / 4
v_mul_lo_u32 v1, 0x20, v1                          // wave coordination offset 1
v_and_b32 v5, 31, v[vgprSerial]                    // v5 = v[vgprSerial] % 32
_v_add_lshl_u32 v1, v5, v1, 0                      // coordination 1 = vwb *(wave_id1 + tid1)
v_mul_lo_u32 v2, v1, s[sgprStrideC1J]              //  offset 1
v_mul_lo_u32 v3, v1, s[sgprStrideD1J]              //  offset 1
v_and_b32 v0, 63, v[vgprSerial]                    // v0 = v[vgprSerial] % 64
v_lshrrev_b32 v0, 5, v0                            // v0 = v0 / 32
v_lshlrev_b32 v0, 0x2, v0                          // thread0 * continuous_output
v_and_b32 v5, 3, v4                                // v5 = v4 % 4
v_mul_lo_u32 v5, 0x20, v5                          // wave coordination offset 0
_v_add_lshl_u32 v0, v5, v0, 0                      // coordination 0 = vwa *(wave_id0 + tid0)
s_mul_i32 s53, 128, s[sgprWorkGroup0]              // wgp0 * MT0
_v_add_u32 v0, s53, v0                             // coord 0 = (tid0/MI_m)*4 + waveG0*MIB_m + MT0*SG0
s_mul_i32 s53, 256, s[sgprWorkGroup1]              // wgp1 * MT1
_v_add_u32 v1, s53, v1                             // coord 1 = (tid0%MI_m) + waveG1*MIB_n + MT1*SG1
/* Store Remap Local Write address */
v_lshrrev_b32 v5, 8, v[vgprSerial]                 // v5 = v[vgprSerial] / 256
v_and_b32 v4, 255, v[vgprSerial]                   // v4 = v[vgprSerial] % 256
v_mul_lo_u32 v13, 0x20, v5                         // coord1 offset of LDS for each Wave
v_and_b32 v5, 0x1f, v[vgprSerial]                  // coord1 offset of LDS for each thread
_v_add_u32 v5, v13, v5                             // coord1 offset in MacroTile
v_mov_b32 v11, 0x84                                // lds stride = MT0 + PAD
v_mul_lo_u32 v9, v5, v11                           // lds coord1 offset = Col-id* lds stride
v_lshrrev_b32 v10, 6, v4                           // v10 = v4 / 64
v_and_b32 v4, 63, v4                               // v4 = v4 % 64
v_lshrrev_b32 v12, 0x5, v4                         // tid / matrixInstN
v_lshlrev_b32 v12, 0x2, v12                        // lds coord0 offset *= 4 (each thread hold 4 element)
v_mad_u32_u24 v12, 32, v10, v12                    // coord0 += waveCoord0 * wave M shape(blockM*MiM)
_v_add_lshl_u32 v7, v9, v12, 0x2                   // local write C address

/* Store Remap Local Read address */
v_lshrrev_b32 v5, 6, v[vgprSerial]                 // v5 = v[vgprSerial] / 64
v_and_b32 v4, 63, v[vgprSerial]                    // v4 = v[vgprSerial] % 64
v_mul_lo_u32 v13, 0x8, v5                          // coord1 offset of LDS for each Wave
v_lshrrev_b32 v10, 0x5, v4                         // tid / nThreadPerCol
_v_add_u32 v6, v13, v10                            // coord1 offset in MacroTile
v_mul_lo_u32 v9, v6, v11                           // lds coord1 offset = Col-id* lds stride
v_and_b32 v12, 0x1f, v4                            // coord0 offset of LDS for each thread
v_lshlrev_b32 v12, 0x2, v12                        // lds coord0 offset *= gwvw (each thread hold gwvw element)
_v_add_lshl_u32 v8, v9, v12, 0x2                   // local read C address

/* Store Remap global write coord0 and coord1 */
v_lshrrev_b32 v5, 8, v[vgprSerial]                 // v5 = v[vgprSerial] / 256
v_and_b32 v4, 255, v[vgprSerial]                   // v4 = v[vgprSerial] % 256
v_mul_lo_u32 v13, 0x20, v5                         // coord1 offset of global memory for each Wave
v_lshrrev_b32 v5, 6, v4                            // v5 = v4 / 64
v_and_b32 v4, 63, v4                               // v4 = v4 % 64
v_mad_u32_u24 v13, 8, v5, v13                      // waveCoord1 += waveCoord0 * MiN / WaveGroupM
v_lshrrev_b32 v10, 0x5, v4                         // tid / nThreadPerCol
_v_add_u32 v6, v13, v10                            // coord1 offset in MacroTile
s_mul_i32 s54, 0x80, s[sgprWorkGroup0]             // s54 = wg0*MT0
_v_add_co_u32 v4, vcc, s54, v12                    // coord0 = coord0 + wg0 * MT0
s_mul_i32 s55, MT1, s[sgprWorkGroup1]              // <- wg1*MT1
_v_add_co_u32 v5, vcc, s55, v6                     // coord1 = tid1*VW + wg1*MT1

s_waitcnt lgkmcnt(0) & vmcnt(0)                    // force waitcnt0
s_barrier //StoreRemap Start


/* not-LocalSplitU: global write */

s_cmpk_eq_u32 s[sgprBeta], 0x0                     // Beta == 0
s_cbranch_scc0 GW_Beta_91                          // Branch if Beta is not zero

s_and_b32 s54, 127, s[sgprSizeI]                   // s54 = s[sgprSizeI] % 128
s_add_u32 s55, -0x1, s[sgprNumWorkGroups0]         // 
s_cmp_ge_u32 s[sgprWorkGroup0], s55                // wg0 >= nwg0-1 ?
s_cselect_b32 s54, s54, 0                          // set rMT0
s_cmpk_gt_u32 s54, 0x0                             // rMT0 > 0
s_cbranch_scc1 GW_B0_E1_82                         // jump if edges required
s_and_b32 s54, 255, s[sgprSizeJ]                   // s54 = s[sgprSizeJ] % 256
s_add_u32 s55, -0x1, s[sgprNumWorkGroups1]         // 
s_cmp_ge_u32 s[sgprWorkGroup1], s55                // wg1 >= nwg1-1
s_cselect_b32 s54, s54, 0                          // set rMT1
s_cmpk_gt_u32 s54, 0x0                             // rMT1 > 0
s_cbranch_scc1 GW_B0_E1_82                         // jump if edges required
GW_B0_E0_79:

/* edge=0, allocate 2 sgpr. perBatchTmpS=2 perBatchMaskS=0 perElementMaskS=0 elementsPerBatch=4 */
/* optSingleColVgpr=1 optSharedColVgpr=0 optSGPRUsage=BufferLoad_Mask optSrdIncForRow=1 */

/******************************************/
/* Global Write Alpha Batch #0 (d1,d0,vc1,vc0) = */
/*    (0,0,0,0:vw4); (0,1,0,0:vw4); (0,2,0,0:vw4); (0,3,0,0:vw4) */
/******************************************/

/* calc coords, apply mask, and issue loads (if necessary) */
/* (d1,vc1,d0,vc0)=(0,0,0,0) */
/* (d1,vc1,d0,vc0)=(0,0,1,0) */
	;; [unrolled: 1-line block ×4, first 2 shown]
_v_add_lshl_u32 v9, v3, v0, 0x2                    // optSingleColVgpr scaleToBpe: sharedAddrVgpr <- cinRowPtr + coord0, scaled by BPE. BSHERE:coord0=0, coord0Vgpr=0
v_accvgpr_read_b32 v[vgprValuC+16], acc0 // copy acc to vreg[0]
v_accvgpr_read_b32 v[vgprValuC+17], acc1 // copy acc to vreg[1]
v_accvgpr_read_b32 v[vgprValuC+18], acc2 // copy acc to vreg[2]
v_accvgpr_read_b32 v[vgprValuC+19], acc3 // copy acc to vreg[3]
v_accvgpr_read_b32 v[vgprValuC+20], acc4 // copy acc to vreg[4]
v_accvgpr_read_b32 v[vgprValuC+21], acc5 // copy acc to vreg[5]
v_accvgpr_read_b32 v[vgprValuC+22], acc6 // copy acc to vreg[6]
v_accvgpr_read_b32 v[vgprValuC+23], acc7 // copy acc to vreg[7]
v_accvgpr_read_b32 v[vgprValuC+24], acc8 // copy acc to vreg[8]
v_accvgpr_read_b32 v[vgprValuC+25], acc9 // copy acc to vreg[9]
v_accvgpr_read_b32 v[vgprValuC+26], acc10 // copy acc to vreg[10]
v_accvgpr_read_b32 v[vgprValuC+27], acc11 // copy acc to vreg[11]
v_accvgpr_read_b32 v[vgprValuC+28], acc12 // copy acc to vreg[12]
v_accvgpr_read_b32 v[vgprValuC+29], acc13 // copy acc to vreg[13]
v_accvgpr_read_b32 v[vgprValuC+30], acc14 // copy acc to vreg[14]
v_accvgpr_read_b32 v[vgprValuC+31], acc15 // copy acc to vreg[15]
s_nop 1                                            // 2 wait states required before reading vgpr

/* rC *= alpha batchElements=[(0, 0, 0, 0), (0, 1, 0, 0), (0, 2, 0, 0), (0, 3, 0, 0)] */
v_mul_lo_u32 v[vgprValuC+16], s[sgprAlpha], v[vgprValuC+16] // *= alpha
v_mul_lo_u32 v[vgprValuC+17], s[sgprAlpha], v[vgprValuC+17] // *= alpha
	;; [unrolled: 1-line block ×16, first 2 shown]

/* apply mask, calc new C and issue writes */
_ds_store_b128 v7, v[16:19], offset:0              // storeRemap lw
_ds_store_b128 v7, v[20:23], offset:32             // storeRemap lw
_ds_store_b128 v7, v[24:27], offset:64             // storeRemap lw
	;; [unrolled: 1-line block ×3, first 2 shown]

/* Handle local read and global write */
s_waitcnt lgkmcnt(0)                               // wait for LDS write
s_barrier //wait all lds write finished

_ds_load_b128 v[16:19], v8, offset:0               // storeRemap lr
_ds_load_b128 v[20:23], v8, offset:1056            // storeRemap lr
_ds_load_b128 v[24:27], v8, offset:2112            // storeRemap lr
_ds_load_b128 v[28:31], v8, offset:3168            // storeRemap lr

v_mov_b32 v13, v6                                  // coord1
v_mul_lo_u32 v13, v13, s[sgprStrideD1J]            // coord1 offset =  coord1 * StrideD
_v_add_lshl_u32 v13, v13, v4, 0x2                  // global write D address
s_waitcnt lgkmcnt(3)                               // wait for LDS read
_buffer_store_b128 v[16:19], v13, s[sgprSrdD:sgprSrdD+3], 0, offen, offset:0 // store D
_v_add_u32 v13, v6, 2                              // coord1 += nColPerLoad
v_mul_lo_u32 v13, v13, s[sgprStrideD1J]            // coord1 offset =  coord1 * StrideD
_v_add_lshl_u32 v13, v13, v4, 0x2                  // global write D address
s_waitcnt lgkmcnt(2)                               // wait for LDS read
_buffer_store_b128 v[20:23], v13, s[sgprSrdD:sgprSrdD+3], 0, offen, offset:0 // store D
_v_add_u32 v13, v6, 4                              // coord1 += nColPerLoad
	;; [unrolled: 5-line block ×3, first 2 shown]
v_mul_lo_u32 v13, v13, s[sgprStrideD1J]            // coord1 offset =  coord1 * StrideD
_v_add_lshl_u32 v13, v13, v4, 0x2                  // global write D address
s_waitcnt lgkmcnt(0)                               // wait for LDS read
_buffer_store_b128 v[28:31], v13, s[sgprSrdD:sgprSrdD+3], 0, offen, offset:0 // store D

s_barrier //wait all lds read finished
s_nop 0                                            // 1 wait state required when next inst writes vgprs held by previous dwordx4 store inst
/* optSingleColVgpr=1 optSharedColVgpr=0 optSGPRUsage=BufferLoad_Mask optSrdIncForRow=1 */

/******************************************/
/* Global Write Alpha Batch #1 (d1,d0,vc1,vc0) = */
/*    (1,0,0,0:vw4); (1,1,0,0:vw4); (1,2,0,0:vw4); (1,3,0,0:vw4) */
/******************************************/

/* calc coords, apply mask, and issue loads (if necessary) */
/* (d1,vc1,d0,vc0)=(1,0,0,0) */
/* (d1,vc1,d0,vc0)=(1,0,1,0) */
	;; [unrolled: 1-line block ×4, first 2 shown]
v_accvgpr_read_b32 v[vgprValuC+16], acc16 // copy acc to vreg[16]
v_accvgpr_read_b32 v[vgprValuC+17], acc17 // copy acc to vreg[17]
v_accvgpr_read_b32 v[vgprValuC+18], acc18 // copy acc to vreg[18]
v_accvgpr_read_b32 v[vgprValuC+19], acc19 // copy acc to vreg[19]
v_accvgpr_read_b32 v[vgprValuC+20], acc20 // copy acc to vreg[20]
v_accvgpr_read_b32 v[vgprValuC+21], acc21 // copy acc to vreg[21]
v_accvgpr_read_b32 v[vgprValuC+22], acc22 // copy acc to vreg[22]
v_accvgpr_read_b32 v[vgprValuC+23], acc23 // copy acc to vreg[23]
v_accvgpr_read_b32 v[vgprValuC+24], acc24 // copy acc to vreg[24]
v_accvgpr_read_b32 v[vgprValuC+25], acc25 // copy acc to vreg[25]
v_accvgpr_read_b32 v[vgprValuC+26], acc26 // copy acc to vreg[26]
v_accvgpr_read_b32 v[vgprValuC+27], acc27 // copy acc to vreg[27]
v_accvgpr_read_b32 v[vgprValuC+28], acc28 // copy acc to vreg[28]
v_accvgpr_read_b32 v[vgprValuC+29], acc29 // copy acc to vreg[29]
v_accvgpr_read_b32 v[vgprValuC+30], acc30 // copy acc to vreg[30]
v_accvgpr_read_b32 v[vgprValuC+31], acc31 // copy acc to vreg[31]
s_nop 1                                            // 2 wait states required before reading vgpr

/* rC *= alpha batchElements=[(1, 0, 0, 0), (1, 1, 0, 0), (1, 2, 0, 0), (1, 3, 0, 0)] */
v_mul_lo_u32 v[vgprValuC+16], s[sgprAlpha], v[vgprValuC+16] // *= alpha
v_mul_lo_u32 v[vgprValuC+17], s[sgprAlpha], v[vgprValuC+17] // *= alpha
	;; [unrolled: 1-line block ×16, first 2 shown]

/* apply mask, calc new C and issue writes */

/* StoreRemap: shift coord1 address */
s_mul_i32 s54, s[sgprStrideD1J], 128               // scale StrideD *= numRows(32) * bpe
s_add_u32  s[sgprSrdD+0], s[sgprSrdD+0], s54       // incToNextRow: gra SRD += inc(lower)
s_addc_u32  s[sgprSrdD+1], s[sgprSrdD+1], 0        // incToNextRow: gra SRD += inc(upper)
v_mov_b32 v10, 32                                  // set shift rows
_v_add_u32 v5, v5, v10                             // shift storeRemap coord1
_ds_store_b128 v7, v[16:19], offset:0              // storeRemap lw
_ds_store_b128 v7, v[20:23], offset:32             // storeRemap lw
_ds_store_b128 v7, v[24:27], offset:64             // storeRemap lw
_ds_store_b128 v7, v[28:31], offset:96             // storeRemap lw

/* Handle local read and global write */
s_waitcnt lgkmcnt(0)                               // wait for LDS write
s_barrier //wait all lds write finished

_ds_load_b128 v[16:19], v8, offset:0               // storeRemap lr
_ds_load_b128 v[20:23], v8, offset:1056            // storeRemap lr
_ds_load_b128 v[24:27], v8, offset:2112            // storeRemap lr
	;; [unrolled: 1-line block ×3, first 2 shown]

v_mov_b32 v13, v6                                  // coord1
v_mul_lo_u32 v13, v13, s[sgprStrideD1J]            // coord1 offset =  coord1 * StrideD
_v_add_lshl_u32 v13, v13, v4, 0x2                  // global write D address
s_waitcnt lgkmcnt(3)                               // wait for LDS read
_buffer_store_b128 v[16:19], v13, s[sgprSrdD:sgprSrdD+3], 0, offen, offset:0 // store D
_v_add_u32 v13, v6, 2                              // coord1 += nColPerLoad
v_mul_lo_u32 v13, v13, s[sgprStrideD1J]            // coord1 offset =  coord1 * StrideD
_v_add_lshl_u32 v13, v13, v4, 0x2                  // global write D address
s_waitcnt lgkmcnt(2)                               // wait for LDS read
_buffer_store_b128 v[20:23], v13, s[sgprSrdD:sgprSrdD+3], 0, offen, offset:0 // store D
_v_add_u32 v13, v6, 4                              // coord1 += nColPerLoad
	;; [unrolled: 5-line block ×3, first 2 shown]
v_mul_lo_u32 v13, v13, s[sgprStrideD1J]            // coord1 offset =  coord1 * StrideD
_v_add_lshl_u32 v13, v13, v4, 0x2                  // global write D address
s_waitcnt lgkmcnt(0)                               // wait for LDS read
_buffer_store_b128 v[28:31], v13, s[sgprSrdD:sgprSrdD+3], 0, offen, offset:0 // store D

s_barrier //wait all lds read finished
s_nop 0                                            // 1 wait state required when next inst writes vgprs held by previous dwordx4 store inst
/* optSingleColVgpr=1 optSharedColVgpr=0 optSGPRUsage=BufferLoad_Mask optSrdIncForRow=1 */

/******************************************/
/* Global Write Alpha Batch #2 (d1,d0,vc1,vc0) = */
/*    (2,0,0,0:vw4); (2,1,0,0:vw4); (2,2,0,0:vw4); (2,3,0,0:vw4) */
/******************************************/

/* calc coords, apply mask, and issue loads (if necessary) */
/* (d1,vc1,d0,vc0)=(2,0,0,0) */
/* (d1,vc1,d0,vc0)=(2,0,1,0) */
	;; [unrolled: 1-line block ×4, first 2 shown]
v_accvgpr_read_b32 v[vgprValuC+16], acc32 // copy acc to vreg[32]
v_accvgpr_read_b32 v[vgprValuC+17], acc33 // copy acc to vreg[33]
v_accvgpr_read_b32 v[vgprValuC+18], acc34 // copy acc to vreg[34]
v_accvgpr_read_b32 v[vgprValuC+19], acc35 // copy acc to vreg[35]
v_accvgpr_read_b32 v[vgprValuC+20], acc36 // copy acc to vreg[36]
v_accvgpr_read_b32 v[vgprValuC+21], acc37 // copy acc to vreg[37]
v_accvgpr_read_b32 v[vgprValuC+22], acc38 // copy acc to vreg[38]
v_accvgpr_read_b32 v[vgprValuC+23], acc39 // copy acc to vreg[39]
v_accvgpr_read_b32 v[vgprValuC+24], acc40 // copy acc to vreg[40]
v_accvgpr_read_b32 v[vgprValuC+25], acc41 // copy acc to vreg[41]
v_accvgpr_read_b32 v[vgprValuC+26], acc42 // copy acc to vreg[42]
v_accvgpr_read_b32 v[vgprValuC+27], acc43 // copy acc to vreg[43]
v_accvgpr_read_b32 v[vgprValuC+28], acc44 // copy acc to vreg[44]
v_accvgpr_read_b32 v[vgprValuC+29], acc45 // copy acc to vreg[45]
v_accvgpr_read_b32 v[vgprValuC+30], acc46 // copy acc to vreg[46]
v_accvgpr_read_b32 v[vgprValuC+31], acc47 // copy acc to vreg[47]
s_nop 1                                            // 2 wait states required before reading vgpr

/* rC *= alpha batchElements=[(2, 0, 0, 0), (2, 1, 0, 0), (2, 2, 0, 0), (2, 3, 0, 0)] */
v_mul_lo_u32 v[vgprValuC+16], s[sgprAlpha], v[vgprValuC+16] // *= alpha
v_mul_lo_u32 v[vgprValuC+17], s[sgprAlpha], v[vgprValuC+17] // *= alpha
	;; [unrolled: 1-line block ×16, first 2 shown]

/* apply mask, calc new C and issue writes */

/* StoreRemap: shift coord1 address */
s_mul_i32 s54, s[sgprStrideD1J], 128               // scale StrideD *= numRows(32) * bpe
s_add_u32  s[sgprSrdD+0], s[sgprSrdD+0], s54       // incToNextRow: gra SRD += inc(lower)
s_addc_u32  s[sgprSrdD+1], s[sgprSrdD+1], 0        // incToNextRow: gra SRD += inc(upper)
v_mov_b32 v10, 32                                  // set shift rows
_v_add_u32 v5, v5, v10                             // shift storeRemap coord1
_ds_store_b128 v7, v[16:19], offset:0              // storeRemap lw
_ds_store_b128 v7, v[20:23], offset:32             // storeRemap lw
_ds_store_b128 v7, v[24:27], offset:64             // storeRemap lw
_ds_store_b128 v7, v[28:31], offset:96             // storeRemap lw

/* Handle local read and global write */
s_waitcnt lgkmcnt(0)                               // wait for LDS write
s_barrier //wait all lds write finished

_ds_load_b128 v[16:19], v8, offset:0               // storeRemap lr
_ds_load_b128 v[20:23], v8, offset:1056            // storeRemap lr
_ds_load_b128 v[24:27], v8, offset:2112            // storeRemap lr
	;; [unrolled: 1-line block ×3, first 2 shown]

v_mov_b32 v13, v6                                  // coord1
v_mul_lo_u32 v13, v13, s[sgprStrideD1J]            // coord1 offset =  coord1 * StrideD
_v_add_lshl_u32 v13, v13, v4, 0x2                  // global write D address
s_waitcnt lgkmcnt(3)                               // wait for LDS read
_buffer_store_b128 v[16:19], v13, s[sgprSrdD:sgprSrdD+3], 0, offen, offset:0 // store D
_v_add_u32 v13, v6, 2                              // coord1 += nColPerLoad
v_mul_lo_u32 v13, v13, s[sgprStrideD1J]            // coord1 offset =  coord1 * StrideD
_v_add_lshl_u32 v13, v13, v4, 0x2                  // global write D address
s_waitcnt lgkmcnt(2)                               // wait for LDS read
_buffer_store_b128 v[20:23], v13, s[sgprSrdD:sgprSrdD+3], 0, offen, offset:0 // store D
_v_add_u32 v13, v6, 4                              // coord1 += nColPerLoad
	;; [unrolled: 5-line block ×3, first 2 shown]
v_mul_lo_u32 v13, v13, s[sgprStrideD1J]            // coord1 offset =  coord1 * StrideD
_v_add_lshl_u32 v13, v13, v4, 0x2                  // global write D address
s_waitcnt lgkmcnt(0)                               // wait for LDS read
_buffer_store_b128 v[28:31], v13, s[sgprSrdD:sgprSrdD+3], 0, offen, offset:0 // store D

s_barrier //wait all lds read finished
s_nop 0                                            // 1 wait state required when next inst writes vgprs held by previous dwordx4 store inst
/* optSingleColVgpr=1 optSharedColVgpr=0 optSGPRUsage=BufferLoad_Mask optSrdIncForRow=1 */

/******************************************/
/* Global Write Alpha Batch #3 (d1,d0,vc1,vc0) = */
/*    (3,0,0,0:vw4); (3,1,0,0:vw4); (3,2,0,0:vw4); (3,3,0,0:vw4) */
/******************************************/

/* calc coords, apply mask, and issue loads (if necessary) */
/* (d1,vc1,d0,vc0)=(3,0,0,0) */
/* (d1,vc1,d0,vc0)=(3,0,1,0) */
	;; [unrolled: 1-line block ×4, first 2 shown]
v_accvgpr_read_b32 v[vgprValuC+16], acc48 // copy acc to vreg[48]
v_accvgpr_read_b32 v[vgprValuC+17], acc49 // copy acc to vreg[49]
v_accvgpr_read_b32 v[vgprValuC+18], acc50 // copy acc to vreg[50]
v_accvgpr_read_b32 v[vgprValuC+19], acc51 // copy acc to vreg[51]
v_accvgpr_read_b32 v[vgprValuC+20], acc52 // copy acc to vreg[52]
v_accvgpr_read_b32 v[vgprValuC+21], acc53 // copy acc to vreg[53]
v_accvgpr_read_b32 v[vgprValuC+22], acc54 // copy acc to vreg[54]
v_accvgpr_read_b32 v[vgprValuC+23], acc55 // copy acc to vreg[55]
v_accvgpr_read_b32 v[vgprValuC+24], acc56 // copy acc to vreg[56]
v_accvgpr_read_b32 v[vgprValuC+25], acc57 // copy acc to vreg[57]
v_accvgpr_read_b32 v[vgprValuC+26], acc58 // copy acc to vreg[58]
v_accvgpr_read_b32 v[vgprValuC+27], acc59 // copy acc to vreg[59]
v_accvgpr_read_b32 v[vgprValuC+28], acc60 // copy acc to vreg[60]
v_accvgpr_read_b32 v[vgprValuC+29], acc61 // copy acc to vreg[61]
v_accvgpr_read_b32 v[vgprValuC+30], acc62 // copy acc to vreg[62]
v_accvgpr_read_b32 v[vgprValuC+31], acc63 // copy acc to vreg[63]
s_nop 1                                            // 2 wait states required before reading vgpr

/* rC *= alpha batchElements=[(3, 0, 0, 0), (3, 1, 0, 0), (3, 2, 0, 0), (3, 3, 0, 0)] */
v_mul_lo_u32 v[vgprValuC+16], s[sgprAlpha], v[vgprValuC+16] // *= alpha
v_mul_lo_u32 v[vgprValuC+17], s[sgprAlpha], v[vgprValuC+17] // *= alpha
	;; [unrolled: 1-line block ×16, first 2 shown]

/* apply mask, calc new C and issue writes */

/* StoreRemap: shift coord1 address */
s_mul_i32 s54, s[sgprStrideD1J], 128               // scale StrideD *= numRows(32) * bpe
s_add_u32  s[sgprSrdD+0], s[sgprSrdD+0], s54       // incToNextRow: gra SRD += inc(lower)
s_addc_u32  s[sgprSrdD+1], s[sgprSrdD+1], 0        // incToNextRow: gra SRD += inc(upper)
v_mov_b32 v10, 32                                  // set shift rows
_v_add_u32 v5, v5, v10                             // shift storeRemap coord1
_ds_store_b128 v7, v[16:19], offset:0              // storeRemap lw
_ds_store_b128 v7, v[20:23], offset:32             // storeRemap lw
_ds_store_b128 v7, v[24:27], offset:64             // storeRemap lw
_ds_store_b128 v7, v[28:31], offset:96             // storeRemap lw

/* Handle local read and global write */
s_waitcnt lgkmcnt(0)                               // wait for LDS write
s_barrier //wait all lds write finished

_ds_load_b128 v[16:19], v8, offset:0               // storeRemap lr
_ds_load_b128 v[20:23], v8, offset:1056            // storeRemap lr
_ds_load_b128 v[24:27], v8, offset:2112            // storeRemap lr
	;; [unrolled: 1-line block ×3, first 2 shown]

v_mov_b32 v13, v6                                  // coord1
v_mul_lo_u32 v13, v13, s[sgprStrideD1J]            // coord1 offset =  coord1 * StrideD
_v_add_lshl_u32 v13, v13, v4, 0x2                  // global write D address
s_waitcnt lgkmcnt(3)                               // wait for LDS read
_buffer_store_b128 v[16:19], v13, s[sgprSrdD:sgprSrdD+3], 0, offen, offset:0 // store D
_v_add_u32 v13, v6, 2                              // coord1 += nColPerLoad
v_mul_lo_u32 v13, v13, s[sgprStrideD1J]            // coord1 offset =  coord1 * StrideD
_v_add_lshl_u32 v13, v13, v4, 0x2                  // global write D address
s_waitcnt lgkmcnt(2)                               // wait for LDS read
_buffer_store_b128 v[20:23], v13, s[sgprSrdD:sgprSrdD+3], 0, offen, offset:0 // store D
_v_add_u32 v13, v6, 4                              // coord1 += nColPerLoad
	;; [unrolled: 5-line block ×3, first 2 shown]
v_mul_lo_u32 v13, v13, s[sgprStrideD1J]            // coord1 offset =  coord1 * StrideD
_v_add_lshl_u32 v13, v13, v4, 0x2                  // global write D address
s_waitcnt lgkmcnt(0)                               // wait for LDS read
_buffer_store_b128 v[28:31], v13, s[sgprSrdD:sgprSrdD+3], 0, offen, offset:0 // store D

s_barrier //wait all lds read finished
s_nop 0                                            // 1 wait state required when next inst writes vgprs held by previous dwordx4 store inst
/* optSingleColVgpr=1 optSharedColVgpr=0 optSGPRUsage=BufferLoad_Mask optSrdIncForRow=1 */

/******************************************/
/* Global Write Alpha Batch #4 (d1,d0,vc1,vc0) = */
/*    (4,0,0,0:vw4); (4,1,0,0:vw4); (4,2,0,0:vw4); (4,3,0,0:vw4) */
/******************************************/

/* calc coords, apply mask, and issue loads (if necessary) */
/* (d1,vc1,d0,vc0)=(4,0,0,0) */
/* (d1,vc1,d0,vc0)=(4,0,1,0) */
	;; [unrolled: 1-line block ×4, first 2 shown]
v_accvgpr_read_b32 v[vgprValuC+16], acc64 // copy acc to vreg[64]
v_accvgpr_read_b32 v[vgprValuC+17], acc65 // copy acc to vreg[65]
v_accvgpr_read_b32 v[vgprValuC+18], acc66 // copy acc to vreg[66]
v_accvgpr_read_b32 v[vgprValuC+19], acc67 // copy acc to vreg[67]
v_accvgpr_read_b32 v[vgprValuC+20], acc68 // copy acc to vreg[68]
v_accvgpr_read_b32 v[vgprValuC+21], acc69 // copy acc to vreg[69]
v_accvgpr_read_b32 v[vgprValuC+22], acc70 // copy acc to vreg[70]
v_accvgpr_read_b32 v[vgprValuC+23], acc71 // copy acc to vreg[71]
v_accvgpr_read_b32 v[vgprValuC+24], acc72 // copy acc to vreg[72]
v_accvgpr_read_b32 v[vgprValuC+25], acc73 // copy acc to vreg[73]
v_accvgpr_read_b32 v[vgprValuC+26], acc74 // copy acc to vreg[74]
v_accvgpr_read_b32 v[vgprValuC+27], acc75 // copy acc to vreg[75]
v_accvgpr_read_b32 v[vgprValuC+28], acc76 // copy acc to vreg[76]
v_accvgpr_read_b32 v[vgprValuC+29], acc77 // copy acc to vreg[77]
v_accvgpr_read_b32 v[vgprValuC+30], acc78 // copy acc to vreg[78]
v_accvgpr_read_b32 v[vgprValuC+31], acc79 // copy acc to vreg[79]
s_nop 1                                            // 2 wait states required before reading vgpr

/* rC *= alpha batchElements=[(4, 0, 0, 0), (4, 1, 0, 0), (4, 2, 0, 0), (4, 3, 0, 0)] */
v_mul_lo_u32 v[vgprValuC+16], s[sgprAlpha], v[vgprValuC+16] // *= alpha
v_mul_lo_u32 v[vgprValuC+17], s[sgprAlpha], v[vgprValuC+17] // *= alpha
	;; [unrolled: 1-line block ×16, first 2 shown]

/* apply mask, calc new C and issue writes */

/* StoreRemap: shift coord1 address */
s_mul_i32 s54, s[sgprStrideD1J], 128               // scale StrideD *= numRows(32) * bpe
s_add_u32  s[sgprSrdD+0], s[sgprSrdD+0], s54       // incToNextRow: gra SRD += inc(lower)
s_addc_u32  s[sgprSrdD+1], s[sgprSrdD+1], 0        // incToNextRow: gra SRD += inc(upper)
v_mov_b32 v10, 32                                  // set shift rows
_v_add_u32 v5, v5, v10                             // shift storeRemap coord1
_ds_store_b128 v7, v[16:19], offset:0              // storeRemap lw
_ds_store_b128 v7, v[20:23], offset:32             // storeRemap lw
_ds_store_b128 v7, v[24:27], offset:64             // storeRemap lw
	;; [unrolled: 1-line block ×3, first 2 shown]

/* Handle local read and global write */
s_waitcnt lgkmcnt(0)                               // wait for LDS write
s_barrier //wait all lds write finished

_ds_load_b128 v[16:19], v8, offset:0               // storeRemap lr
_ds_load_b128 v[20:23], v8, offset:1056            // storeRemap lr
_ds_load_b128 v[24:27], v8, offset:2112            // storeRemap lr
	;; [unrolled: 1-line block ×3, first 2 shown]

v_mov_b32 v13, v6                                  // coord1
v_mul_lo_u32 v13, v13, s[sgprStrideD1J]            // coord1 offset =  coord1 * StrideD
_v_add_lshl_u32 v13, v13, v4, 0x2                  // global write D address
s_waitcnt lgkmcnt(3)                               // wait for LDS read
_buffer_store_b128 v[16:19], v13, s[sgprSrdD:sgprSrdD+3], 0, offen, offset:0 // store D
_v_add_u32 v13, v6, 2                              // coord1 += nColPerLoad
v_mul_lo_u32 v13, v13, s[sgprStrideD1J]            // coord1 offset =  coord1 * StrideD
_v_add_lshl_u32 v13, v13, v4, 0x2                  // global write D address
s_waitcnt lgkmcnt(2)                               // wait for LDS read
_buffer_store_b128 v[20:23], v13, s[sgprSrdD:sgprSrdD+3], 0, offen, offset:0 // store D
_v_add_u32 v13, v6, 4                              // coord1 += nColPerLoad
	;; [unrolled: 5-line block ×3, first 2 shown]
v_mul_lo_u32 v13, v13, s[sgprStrideD1J]            // coord1 offset =  coord1 * StrideD
_v_add_lshl_u32 v13, v13, v4, 0x2                  // global write D address
s_waitcnt lgkmcnt(0)                               // wait for LDS read
_buffer_store_b128 v[28:31], v13, s[sgprSrdD:sgprSrdD+3], 0, offen, offset:0 // store D

s_barrier //wait all lds read finished
s_nop 0                                            // 1 wait state required when next inst writes vgprs held by previous dwordx4 store inst
/* optSingleColVgpr=1 optSharedColVgpr=0 optSGPRUsage=BufferLoad_Mask optSrdIncForRow=1 */

/******************************************/
/* Global Write Alpha Batch #5 (d1,d0,vc1,vc0) = */
/*    (5,0,0,0:vw4); (5,1,0,0:vw4); (5,2,0,0:vw4); (5,3,0,0:vw4) */
/******************************************/

/* calc coords, apply mask, and issue loads (if necessary) */
/* (d1,vc1,d0,vc0)=(5,0,0,0) */
/* (d1,vc1,d0,vc0)=(5,0,1,0) */
	;; [unrolled: 1-line block ×4, first 2 shown]
v_accvgpr_read_b32 v[vgprValuC+16], acc80 // copy acc to vreg[80]
v_accvgpr_read_b32 v[vgprValuC+17], acc81 // copy acc to vreg[81]
v_accvgpr_read_b32 v[vgprValuC+18], acc82 // copy acc to vreg[82]
v_accvgpr_read_b32 v[vgprValuC+19], acc83 // copy acc to vreg[83]
v_accvgpr_read_b32 v[vgprValuC+20], acc84 // copy acc to vreg[84]
v_accvgpr_read_b32 v[vgprValuC+21], acc85 // copy acc to vreg[85]
v_accvgpr_read_b32 v[vgprValuC+22], acc86 // copy acc to vreg[86]
v_accvgpr_read_b32 v[vgprValuC+23], acc87 // copy acc to vreg[87]
v_accvgpr_read_b32 v[vgprValuC+24], acc88 // copy acc to vreg[88]
v_accvgpr_read_b32 v[vgprValuC+25], acc89 // copy acc to vreg[89]
v_accvgpr_read_b32 v[vgprValuC+26], acc90 // copy acc to vreg[90]
v_accvgpr_read_b32 v[vgprValuC+27], acc91 // copy acc to vreg[91]
v_accvgpr_read_b32 v[vgprValuC+28], acc92 // copy acc to vreg[92]
v_accvgpr_read_b32 v[vgprValuC+29], acc93 // copy acc to vreg[93]
v_accvgpr_read_b32 v[vgprValuC+30], acc94 // copy acc to vreg[94]
v_accvgpr_read_b32 v[vgprValuC+31], acc95 // copy acc to vreg[95]
s_nop 1                                            // 2 wait states required before reading vgpr

/* rC *= alpha batchElements=[(5, 0, 0, 0), (5, 1, 0, 0), (5, 2, 0, 0), (5, 3, 0, 0)] */
v_mul_lo_u32 v[vgprValuC+16], s[sgprAlpha], v[vgprValuC+16] // *= alpha
v_mul_lo_u32 v[vgprValuC+17], s[sgprAlpha], v[vgprValuC+17] // *= alpha
	;; [unrolled: 1-line block ×16, first 2 shown]

/* apply mask, calc new C and issue writes */

/* StoreRemap: shift coord1 address */
s_mul_i32 s54, s[sgprStrideD1J], 128               // scale StrideD *= numRows(32) * bpe
s_add_u32  s[sgprSrdD+0], s[sgprSrdD+0], s54       // incToNextRow: gra SRD += inc(lower)
s_addc_u32  s[sgprSrdD+1], s[sgprSrdD+1], 0        // incToNextRow: gra SRD += inc(upper)
v_mov_b32 v10, 32                                  // set shift rows
_v_add_u32 v5, v5, v10                             // shift storeRemap coord1
_ds_store_b128 v7, v[16:19], offset:0              // storeRemap lw
_ds_store_b128 v7, v[20:23], offset:32             // storeRemap lw
_ds_store_b128 v7, v[24:27], offset:64             // storeRemap lw
	;; [unrolled: 1-line block ×3, first 2 shown]

/* Handle local read and global write */
s_waitcnt lgkmcnt(0)                               // wait for LDS write
s_barrier //wait all lds write finished

_ds_load_b128 v[16:19], v8, offset:0               // storeRemap lr
_ds_load_b128 v[20:23], v8, offset:1056            // storeRemap lr
_ds_load_b128 v[24:27], v8, offset:2112            // storeRemap lr
	;; [unrolled: 1-line block ×3, first 2 shown]

v_mov_b32 v13, v6                                  // coord1
v_mul_lo_u32 v13, v13, s[sgprStrideD1J]            // coord1 offset =  coord1 * StrideD
_v_add_lshl_u32 v13, v13, v4, 0x2                  // global write D address
s_waitcnt lgkmcnt(3)                               // wait for LDS read
_buffer_store_b128 v[16:19], v13, s[sgprSrdD:sgprSrdD+3], 0, offen, offset:0 // store D
_v_add_u32 v13, v6, 2                              // coord1 += nColPerLoad
v_mul_lo_u32 v13, v13, s[sgprStrideD1J]            // coord1 offset =  coord1 * StrideD
_v_add_lshl_u32 v13, v13, v4, 0x2                  // global write D address
s_waitcnt lgkmcnt(2)                               // wait for LDS read
_buffer_store_b128 v[20:23], v13, s[sgprSrdD:sgprSrdD+3], 0, offen, offset:0 // store D
_v_add_u32 v13, v6, 4                              // coord1 += nColPerLoad
v_mul_lo_u32 v13, v13, s[sgprStrideD1J]            // coord1 offset =  coord1 * StrideD
_v_add_lshl_u32 v13, v13, v4, 0x2                  // global write D address
s_waitcnt lgkmcnt(1)                               // wait for LDS read
_buffer_store_b128 v[24:27], v13, s[sgprSrdD:sgprSrdD+3], 0, offen, offset:0 // store D
_v_add_u32 v13, v6, 6                              // coord1 += nColPerLoad
v_mul_lo_u32 v13, v13, s[sgprStrideD1J]            // coord1 offset =  coord1 * StrideD
_v_add_lshl_u32 v13, v13, v4, 0x2                  // global write D address
s_waitcnt lgkmcnt(0)                               // wait for LDS read
_buffer_store_b128 v[28:31], v13, s[sgprSrdD:sgprSrdD+3], 0, offen, offset:0 // store D

s_barrier //wait all lds read finished
s_nop 0                                            // 1 wait state required when next inst writes vgprs held by previous dwordx4 store inst
/* optSingleColVgpr=1 optSharedColVgpr=0 optSGPRUsage=BufferLoad_Mask optSrdIncForRow=1 */

/******************************************/
/* Global Write Alpha Batch #6 (d1,d0,vc1,vc0) = */
/*    (6,0,0,0:vw4); (6,1,0,0:vw4); (6,2,0,0:vw4); (6,3,0,0:vw4) */
/******************************************/

/* calc coords, apply mask, and issue loads (if necessary) */
/* (d1,vc1,d0,vc0)=(6,0,0,0) */
/* (d1,vc1,d0,vc0)=(6,0,1,0) */
	;; [unrolled: 1-line block ×4, first 2 shown]
v_accvgpr_read_b32 v[vgprValuC+16], acc96 // copy acc to vreg[96]
v_accvgpr_read_b32 v[vgprValuC+17], acc97 // copy acc to vreg[97]
v_accvgpr_read_b32 v[vgprValuC+18], acc98 // copy acc to vreg[98]
v_accvgpr_read_b32 v[vgprValuC+19], acc99 // copy acc to vreg[99]
v_accvgpr_read_b32 v[vgprValuC+20], acc100 // copy acc to vreg[100]
v_accvgpr_read_b32 v[vgprValuC+21], acc101 // copy acc to vreg[101]
v_accvgpr_read_b32 v[vgprValuC+22], acc102 // copy acc to vreg[102]
v_accvgpr_read_b32 v[vgprValuC+23], acc103 // copy acc to vreg[103]
v_accvgpr_read_b32 v[vgprValuC+24], acc104 // copy acc to vreg[104]
v_accvgpr_read_b32 v[vgprValuC+25], acc105 // copy acc to vreg[105]
v_accvgpr_read_b32 v[vgprValuC+26], acc106 // copy acc to vreg[106]
v_accvgpr_read_b32 v[vgprValuC+27], acc107 // copy acc to vreg[107]
v_accvgpr_read_b32 v[vgprValuC+28], acc108 // copy acc to vreg[108]
v_accvgpr_read_b32 v[vgprValuC+29], acc109 // copy acc to vreg[109]
v_accvgpr_read_b32 v[vgprValuC+30], acc110 // copy acc to vreg[110]
v_accvgpr_read_b32 v[vgprValuC+31], acc111 // copy acc to vreg[111]
s_nop 1                                            // 2 wait states required before reading vgpr

/* rC *= alpha batchElements=[(6, 0, 0, 0), (6, 1, 0, 0), (6, 2, 0, 0), (6, 3, 0, 0)] */
v_mul_lo_u32 v[vgprValuC+16], s[sgprAlpha], v[vgprValuC+16] // *= alpha
v_mul_lo_u32 v[vgprValuC+17], s[sgprAlpha], v[vgprValuC+17] // *= alpha
	;; [unrolled: 1-line block ×16, first 2 shown]

/* apply mask, calc new C and issue writes */

/* StoreRemap: shift coord1 address */
s_mul_i32 s54, s[sgprStrideD1J], 128               // scale StrideD *= numRows(32) * bpe
s_add_u32  s[sgprSrdD+0], s[sgprSrdD+0], s54       // incToNextRow: gra SRD += inc(lower)
s_addc_u32  s[sgprSrdD+1], s[sgprSrdD+1], 0        // incToNextRow: gra SRD += inc(upper)
v_mov_b32 v10, 32                                  // set shift rows
_v_add_u32 v5, v5, v10                             // shift storeRemap coord1
_ds_store_b128 v7, v[16:19], offset:0              // storeRemap lw
_ds_store_b128 v7, v[20:23], offset:32             // storeRemap lw
_ds_store_b128 v7, v[24:27], offset:64             // storeRemap lw
_ds_store_b128 v7, v[28:31], offset:96             // storeRemap lw

/* Handle local read and global write */
s_waitcnt lgkmcnt(0)                               // wait for LDS write
s_barrier //wait all lds write finished

_ds_load_b128 v[16:19], v8, offset:0               // storeRemap lr
_ds_load_b128 v[20:23], v8, offset:1056            // storeRemap lr
_ds_load_b128 v[24:27], v8, offset:2112            // storeRemap lr
	;; [unrolled: 1-line block ×3, first 2 shown]

v_mov_b32 v13, v6                                  // coord1
v_mul_lo_u32 v13, v13, s[sgprStrideD1J]            // coord1 offset =  coord1 * StrideD
_v_add_lshl_u32 v13, v13, v4, 0x2                  // global write D address
s_waitcnt lgkmcnt(3)                               // wait for LDS read
_buffer_store_b128 v[16:19], v13, s[sgprSrdD:sgprSrdD+3], 0, offen, offset:0 // store D
_v_add_u32 v13, v6, 2                              // coord1 += nColPerLoad
v_mul_lo_u32 v13, v13, s[sgprStrideD1J]            // coord1 offset =  coord1 * StrideD
_v_add_lshl_u32 v13, v13, v4, 0x2                  // global write D address
s_waitcnt lgkmcnt(2)                               // wait for LDS read
_buffer_store_b128 v[20:23], v13, s[sgprSrdD:sgprSrdD+3], 0, offen, offset:0 // store D
_v_add_u32 v13, v6, 4                              // coord1 += nColPerLoad
	;; [unrolled: 5-line block ×3, first 2 shown]
v_mul_lo_u32 v13, v13, s[sgprStrideD1J]            // coord1 offset =  coord1 * StrideD
_v_add_lshl_u32 v13, v13, v4, 0x2                  // global write D address
s_waitcnt lgkmcnt(0)                               // wait for LDS read
_buffer_store_b128 v[28:31], v13, s[sgprSrdD:sgprSrdD+3], 0, offen, offset:0 // store D

s_barrier //wait all lds read finished
s_nop 0                                            // 1 wait state required when next inst writes vgprs held by previous dwordx4 store inst
/* optSingleColVgpr=1 optSharedColVgpr=0 optSGPRUsage=BufferLoad_Mask optSrdIncForRow=1 */

/******************************************/
/* Global Write Alpha Batch #7 (d1,d0,vc1,vc0) = */
/*    (7,0,0,0:vw4); (7,1,0,0:vw4); (7,2,0,0:vw4); (7,3,0,0:vw4) */
/******************************************/

/* calc coords, apply mask, and issue loads (if necessary) */
/* (d1,vc1,d0,vc0)=(7,0,0,0) */
/* (d1,vc1,d0,vc0)=(7,0,1,0) */
	;; [unrolled: 1-line block ×4, first 2 shown]
v_accvgpr_read_b32 v[vgprValuC+16], acc112 // copy acc to vreg[112]
v_accvgpr_read_b32 v[vgprValuC+17], acc113 // copy acc to vreg[113]
v_accvgpr_read_b32 v[vgprValuC+18], acc114 // copy acc to vreg[114]
v_accvgpr_read_b32 v[vgprValuC+19], acc115 // copy acc to vreg[115]
v_accvgpr_read_b32 v[vgprValuC+20], acc116 // copy acc to vreg[116]
v_accvgpr_read_b32 v[vgprValuC+21], acc117 // copy acc to vreg[117]
v_accvgpr_read_b32 v[vgprValuC+22], acc118 // copy acc to vreg[118]
v_accvgpr_read_b32 v[vgprValuC+23], acc119 // copy acc to vreg[119]
v_accvgpr_read_b32 v[vgprValuC+24], acc120 // copy acc to vreg[120]
v_accvgpr_read_b32 v[vgprValuC+25], acc121 // copy acc to vreg[121]
v_accvgpr_read_b32 v[vgprValuC+26], acc122 // copy acc to vreg[122]
v_accvgpr_read_b32 v[vgprValuC+27], acc123 // copy acc to vreg[123]
v_accvgpr_read_b32 v[vgprValuC+28], acc124 // copy acc to vreg[124]
v_accvgpr_read_b32 v[vgprValuC+29], acc125 // copy acc to vreg[125]
v_accvgpr_read_b32 v[vgprValuC+30], acc126 // copy acc to vreg[126]
v_accvgpr_read_b32 v[vgprValuC+31], acc127 // copy acc to vreg[127]
s_nop 1                                            // 2 wait states required before reading vgpr

/* rC *= alpha batchElements=[(7, 0, 0, 0), (7, 1, 0, 0), (7, 2, 0, 0), (7, 3, 0, 0)] */
v_mul_lo_u32 v[vgprValuC+16], s[sgprAlpha], v[vgprValuC+16] // *= alpha
v_mul_lo_u32 v[vgprValuC+17], s[sgprAlpha], v[vgprValuC+17] // *= alpha
v_mul_lo_u32 v[vgprValuC+18], s[sgprAlpha], v[vgprValuC+18] // *= alpha
v_mul_lo_u32 v[vgprValuC+19], s[sgprAlpha], v[vgprValuC+19] // *= alpha
v_mul_lo_u32 v[vgprValuC+20], s[sgprAlpha], v[vgprValuC+20] // *= alpha
v_mul_lo_u32 v[vgprValuC+21], s[sgprAlpha], v[vgprValuC+21] // *= alpha
v_mul_lo_u32 v[vgprValuC+22], s[sgprAlpha], v[vgprValuC+22] // *= alpha
v_mul_lo_u32 v[vgprValuC+23], s[sgprAlpha], v[vgprValuC+23] // *= alpha
v_mul_lo_u32 v[vgprValuC+24], s[sgprAlpha], v[vgprValuC+24] // *= alpha
v_mul_lo_u32 v[vgprValuC+25], s[sgprAlpha], v[vgprValuC+25] // *= alpha
v_mul_lo_u32 v[vgprValuC+26], s[sgprAlpha], v[vgprValuC+26] // *= alpha
v_mul_lo_u32 v[vgprValuC+27], s[sgprAlpha], v[vgprValuC+27] // *= alpha
v_mul_lo_u32 v[vgprValuC+28], s[sgprAlpha], v[vgprValuC+28] // *= alpha
v_mul_lo_u32 v[vgprValuC+29], s[sgprAlpha], v[vgprValuC+29] // *= alpha
v_mul_lo_u32 v[vgprValuC+30], s[sgprAlpha], v[vgprValuC+30] // *= alpha
v_mul_lo_u32 v[vgprValuC+31], s[sgprAlpha], v[vgprValuC+31] // *= alpha

/* apply mask, calc new C and issue writes */

/* StoreRemap: shift coord1 address */
s_mul_i32 s54, s[sgprStrideD1J], 128               // scale StrideD *= numRows(32) * bpe
s_add_u32  s[sgprSrdD+0], s[sgprSrdD+0], s54       // incToNextRow: gra SRD += inc(lower)
s_addc_u32  s[sgprSrdD+1], s[sgprSrdD+1], 0        // incToNextRow: gra SRD += inc(upper)
v_mov_b32 v10, 32                                  // set shift rows
_v_add_u32 v5, v5, v10                             // shift storeRemap coord1
_ds_store_b128 v7, v[16:19], offset:0              // storeRemap lw
_ds_store_b128 v7, v[20:23], offset:32             // storeRemap lw
_ds_store_b128 v7, v[24:27], offset:64             // storeRemap lw
	;; [unrolled: 1-line block ×3, first 2 shown]

/* Handle local read and global write */
s_waitcnt lgkmcnt(0)                               // wait for LDS write
s_barrier //wait all lds write finished

_ds_load_b128 v[16:19], v8, offset:0               // storeRemap lr
_ds_load_b128 v[20:23], v8, offset:1056            // storeRemap lr
_ds_load_b128 v[24:27], v8, offset:2112            // storeRemap lr
_ds_load_b128 v[28:31], v8, offset:3168            // storeRemap lr

v_mov_b32 v13, v6                                  // coord1
v_mul_lo_u32 v13, v13, s[sgprStrideD1J]            // coord1 offset =  coord1 * StrideD
_v_add_lshl_u32 v13, v13, v4, 0x2                  // global write D address
s_waitcnt lgkmcnt(3)                               // wait for LDS read
_buffer_store_b128 v[16:19], v13, s[sgprSrdD:sgprSrdD+3], 0, offen, offset:0 // store D
_v_add_u32 v13, v6, 2                              // coord1 += nColPerLoad
v_mul_lo_u32 v13, v13, s[sgprStrideD1J]            // coord1 offset =  coord1 * StrideD
_v_add_lshl_u32 v13, v13, v4, 0x2                  // global write D address
s_waitcnt lgkmcnt(2)                               // wait for LDS read
_buffer_store_b128 v[20:23], v13, s[sgprSrdD:sgprSrdD+3], 0, offen, offset:0 // store D
_v_add_u32 v13, v6, 4                              // coord1 += nColPerLoad
	;; [unrolled: 5-line block ×3, first 2 shown]
v_mul_lo_u32 v13, v13, s[sgprStrideD1J]            // coord1 offset =  coord1 * StrideD
_v_add_lshl_u32 v13, v13, v4, 0x2                  // global write D address
s_waitcnt lgkmcnt(0)                               // wait for LDS read
_buffer_store_b128 v[28:31], v13, s[sgprSrdD:sgprSrdD+3], 0, offen, offset:0 // store D

s_barrier //wait all lds read finished
s_nop 0                                            // 1 wait state required when next inst writes vgprs held by previous dwordx4 store inst
s_branch label_GW_End_90                           // jump to end
GW_B0_E1_82:

/* edge=0, allocate 6 sgpr. perBatchTmpS=4 perBatchMaskS=2 perElementMaskS=0 elementsPerBatch=4 */
/* optSingleColVgpr=0 optSharedColVgpr=0 optSGPRUsage=BufferLoad_Edge_Mask optSrdIncForRow=1 */

/******************************************/
/* Global Write Alpha Edge Batch #0 (d1,d0,vc1,vc0) = */
/*    (0,0,0,0:vw4); (0,1,0,0:vw4); (0,2,0,0:vw4); (0,3,0,0:vw4) */
/******************************************/

/* calc coords, apply mask, and issue loads (if necessary) */
/* (d1,vc1,d0,vc0)=(0,0,0,0) */
_v_add_lshl_u32 v9, v3, v0, 0x2                    // scaleToBpe: accumulate d0 lower and *= bpe into Cin addr
/* (d1,vc1,d0,vc0)=(0,0,1,0) */
_v_add_co_u32 v10, vcc, v0, 8                      // coord0.1: coord0 += d0*sg0*VW + vc0
_v_add_lshl_u32 v16, v3, v10, 0x2                  // scaleToBpe: accumulate d0 lower and *= bpe into Cin addr
/* (d1,vc1,d0,vc0)=(0,0,2,0) */
_v_add_co_u32 v10, vcc, v0, 16                     // coord0.1: coord0 += d0*sg0*VW + vc0
_v_add_lshl_u32 v17, v3, v10, 0x2                  // scaleToBpe: accumulate d0 lower and *= bpe into Cin addr
/* (d1,vc1,d0,vc0)=(0,0,3,0) */
_v_add_co_u32 v10, vcc, v0, 24                     // coord0.1: coord0 += d0*sg0*VW + vc0
_v_add_lshl_u32 v18, v3, v10, 0x2                  // scaleToBpe: accumulate d0 lower and *= bpe into Cin addr
v_accvgpr_read_b32 v[vgprValuC+12], acc0 // copy acc to vreg[0]
v_accvgpr_read_b32 v[vgprValuC+13], acc1 // copy acc to vreg[1]
v_accvgpr_read_b32 v[vgprValuC+14], acc2 // copy acc to vreg[2]
v_accvgpr_read_b32 v[vgprValuC+15], acc3 // copy acc to vreg[3]
v_accvgpr_read_b32 v[vgprValuC+20], acc4 // copy acc to vreg[4]
v_accvgpr_read_b32 v[vgprValuC+21], acc5 // copy acc to vreg[5]
v_accvgpr_read_b32 v[vgprValuC+22], acc6 // copy acc to vreg[6]
v_accvgpr_read_b32 v[vgprValuC+23], acc7 // copy acc to vreg[7]
v_accvgpr_read_b32 v[vgprValuC+24], acc8 // copy acc to vreg[8]
v_accvgpr_read_b32 v[vgprValuC+25], acc9 // copy acc to vreg[9]
v_accvgpr_read_b32 v[vgprValuC+26], acc10 // copy acc to vreg[10]
v_accvgpr_read_b32 v[vgprValuC+27], acc11 // copy acc to vreg[11]
v_accvgpr_read_b32 v[vgprValuC+28], acc12 // copy acc to vreg[12]
v_accvgpr_read_b32 v[vgprValuC+29], acc13 // copy acc to vreg[13]
v_accvgpr_read_b32 v[vgprValuC+30], acc14 // copy acc to vreg[14]
v_accvgpr_read_b32 v[vgprValuC+31], acc15 // copy acc to vreg[15]
s_nop 1                                            // 2 wait states required before reading vgpr

/* rC *= alpha batchElements=[(0, 0, 0, 0), (0, 1, 0, 0), (0, 2, 0, 0), (0, 3, 0, 0)] */
v_mul_lo_u32 v[vgprValuC+12], s[sgprAlpha], v[vgprValuC+12] // *= alpha
v_mul_lo_u32 v[vgprValuC+13], s[sgprAlpha], v[vgprValuC+13] // *= alpha
	;; [unrolled: 1-line block ×16, first 2 shown]

/* apply mask, calc new C and issue writes */
_ds_store_b128 v7, v[12:15], offset:0              // storeRemap lw
_ds_store_b128 v7, v[20:23], offset:32             // storeRemap lw
_ds_store_b128 v7, v[24:27], offset:64             // storeRemap lw
	;; [unrolled: 1-line block ×3, first 2 shown]

/* Handle local read and global write */
s_waitcnt lgkmcnt(0)                               // wait for LDS write
s_barrier //wait all lds write finished

_ds_load_b128 v[12:15], v8, offset:0               // storeRemap lr
_ds_load_b128 v[16:19], v8, offset:1056            // storeRemap lr
_ds_load_b128 v[20:23], v8, offset:2112            // storeRemap lr
	;; [unrolled: 1-line block ×3, first 2 shown]

s_waitcnt lgkmcnt(3)                               // wait for LDS read
_v_add_u32 v11, v5, 0                              // coord1 += nColPerLoad
_v_add_u32 v10, v4, 0                              // coord0 += element index of load vector
_v_add_u32 v9, v6, 0                               // offset coord1 += nColPerLoad
v_cmp_lt_u32 s[54:55], v10, s[sgprSizeI]           // coord0 < size0
v_cmp_lt_u32 s[56:57], v11, s[sgprSizeJ]           // coord1 < size1
s_and_b64 s[56:57], s[54:55], s[56:57]             // in0 && in1
v_mul_lo_u32 v9, v9, s[sgprStrideD1J]              // coord1 element offset =  coord1 * StrideD
_v_add_lshl_u32 v9, v9, v10, 0x2                   // scale to BPE
v_cndmask_b32 v9, -1, v9, s[56:57]                 // clip if OOB. offset
_buffer_store_b32 v12, v9, s[sgprSrdD:sgprSrdD+3], 0, offen, offset:0 // store D
_v_add_u32 v11, v5, 0                              // coord1 += nColPerLoad
_v_add_u32 v10, v4, 1                              // coord0 += element index of load vector
_v_add_u32 v9, v6, 0                               // offset coord1 += nColPerLoad
v_cmp_lt_u32 s[54:55], v10, s[sgprSizeI]           // coord0 < size0
v_cmp_lt_u32 s[56:57], v11, s[sgprSizeJ]           // coord1 < size1
s_and_b64 s[56:57], s[54:55], s[56:57]             // in0 && in1
v_mul_lo_u32 v9, v9, s[sgprStrideD1J]              // coord1 element offset =  coord1 * StrideD
_v_add_lshl_u32 v9, v9, v10, 0x2                   // scale to BPE
v_cndmask_b32 v9, -1, v9, s[56:57]                 // clip if OOB. offset
_buffer_store_b32 v13, v9, s[sgprSrdD:sgprSrdD+3], 0, offen, offset:0 // store D
_v_add_u32 v11, v5, 0                              // coord1 += nColPerLoad
_v_add_u32 v10, v4, 2                              // coord0 += element index of load vector
_v_add_u32 v9, v6, 0                               // offset coord1 += nColPerLoad
v_cmp_lt_u32 s[54:55], v10, s[sgprSizeI]           // coord0 < size0
v_cmp_lt_u32 s[56:57], v11, s[sgprSizeJ]           // coord1 < size1
s_and_b64 s[56:57], s[54:55], s[56:57]             // in0 && in1
v_mul_lo_u32 v9, v9, s[sgprStrideD1J]              // coord1 element offset =  coord1 * StrideD
_v_add_lshl_u32 v9, v9, v10, 0x2                   // scale to BPE
v_cndmask_b32 v9, -1, v9, s[56:57]                 // clip if OOB. offset
_buffer_store_b32 v14, v9, s[sgprSrdD:sgprSrdD+3], 0, offen, offset:0 // store D
_v_add_u32 v11, v5, 0                              // coord1 += nColPerLoad
_v_add_u32 v10, v4, 3                              // coord0 += element index of load vector
_v_add_u32 v9, v6, 0                               // offset coord1 += nColPerLoad
v_cmp_lt_u32 s[54:55], v10, s[sgprSizeI]           // coord0 < size0
v_cmp_lt_u32 s[56:57], v11, s[sgprSizeJ]           // coord1 < size1
s_and_b64 s[56:57], s[54:55], s[56:57]             // in0 && in1
v_mul_lo_u32 v9, v9, s[sgprStrideD1J]              // coord1 element offset =  coord1 * StrideD
_v_add_lshl_u32 v9, v9, v10, 0x2                   // scale to BPE
v_cndmask_b32 v9, -1, v9, s[56:57]                 // clip if OOB. offset
_buffer_store_b32 v15, v9, s[sgprSrdD:sgprSrdD+3], 0, offen, offset:0 // store D
s_waitcnt lgkmcnt(2)                               // wait for LDS read
_v_add_u32 v11, v5, 2                              // coord1 += nColPerLoad
_v_add_u32 v10, v4, 0                              // coord0 += element index of load vector
_v_add_u32 v9, v6, 2                               // offset coord1 += nColPerLoad
v_cmp_lt_u32 s[54:55], v10, s[sgprSizeI]           // coord0 < size0
v_cmp_lt_u32 s[56:57], v11, s[sgprSizeJ]           // coord1 < size1
s_and_b64 s[56:57], s[54:55], s[56:57]             // in0 && in1
v_mul_lo_u32 v9, v9, s[sgprStrideD1J]              // coord1 element offset =  coord1 * StrideD
_v_add_lshl_u32 v9, v9, v10, 0x2                   // scale to BPE
v_cndmask_b32 v9, -1, v9, s[56:57]                 // clip if OOB. offset
_buffer_store_b32 v16, v9, s[sgprSrdD:sgprSrdD+3], 0, offen, offset:0 // store D
_v_add_u32 v11, v5, 2                              // coord1 += nColPerLoad
_v_add_u32 v10, v4, 1                              // coord0 += element index of load vector
_v_add_u32 v9, v6, 2                               // offset coord1 += nColPerLoad
v_cmp_lt_u32 s[54:55], v10, s[sgprSizeI]           // coord0 < size0
v_cmp_lt_u32 s[56:57], v11, s[sgprSizeJ]           // coord1 < size1
s_and_b64 s[56:57], s[54:55], s[56:57]             // in0 && in1
v_mul_lo_u32 v9, v9, s[sgprStrideD1J]              // coord1 element offset =  coord1 * StrideD
_v_add_lshl_u32 v9, v9, v10, 0x2                   // scale to BPE
v_cndmask_b32 v9, -1, v9, s[56:57]                 // clip if OOB. offset
_buffer_store_b32 v17, v9, s[sgprSrdD:sgprSrdD+3], 0, offen, offset:0 // store D
_v_add_u32 v11, v5, 2                              // coord1 += nColPerLoad
_v_add_u32 v10, v4, 2                              // coord0 += element index of load vector
_v_add_u32 v9, v6, 2                               // offset coord1 += nColPerLoad
v_cmp_lt_u32 s[54:55], v10, s[sgprSizeI]           // coord0 < size0
v_cmp_lt_u32 s[56:57], v11, s[sgprSizeJ]           // coord1 < size1
s_and_b64 s[56:57], s[54:55], s[56:57]             // in0 && in1
v_mul_lo_u32 v9, v9, s[sgprStrideD1J]              // coord1 element offset =  coord1 * StrideD
_v_add_lshl_u32 v9, v9, v10, 0x2                   // scale to BPE
v_cndmask_b32 v9, -1, v9, s[56:57]                 // clip if OOB. offset
_buffer_store_b32 v18, v9, s[sgprSrdD:sgprSrdD+3], 0, offen, offset:0 // store D
_v_add_u32 v11, v5, 2                              // coord1 += nColPerLoad
_v_add_u32 v10, v4, 3                              // coord0 += element index of load vector
_v_add_u32 v9, v6, 2                               // offset coord1 += nColPerLoad
v_cmp_lt_u32 s[54:55], v10, s[sgprSizeI]           // coord0 < size0
v_cmp_lt_u32 s[56:57], v11, s[sgprSizeJ]           // coord1 < size1
s_and_b64 s[56:57], s[54:55], s[56:57]             // in0 && in1
v_mul_lo_u32 v9, v9, s[sgprStrideD1J]              // coord1 element offset =  coord1 * StrideD
_v_add_lshl_u32 v9, v9, v10, 0x2                   // scale to BPE
v_cndmask_b32 v9, -1, v9, s[56:57]                 // clip if OOB. offset
_buffer_store_b32 v19, v9, s[sgprSrdD:sgprSrdD+3], 0, offen, offset:0 // store D
	;; [unrolled: 41-line block ×4, first 2 shown]

s_barrier //wait all lds read finished
s_nop 0                                            // 1 wait state required when next inst writes vgprs held by previous dwordx4 store inst
/* optSingleColVgpr=0 optSharedColVgpr=0 optSGPRUsage=BufferLoad_Edge_Mask optSrdIncForRow=1 */

/******************************************/
/* Global Write Alpha Edge Batch #1 (d1,d0,vc1,vc0) = */
/*    (1,0,0,0:vw4); (1,1,0,0:vw4); (1,2,0,0:vw4); (1,3,0,0:vw4) */
/******************************************/

/* calc coords, apply mask, and issue loads (if necessary) */
/* (d1,vc1,d0,vc0)=(1,0,0,0) */
_v_add_co_u32 v1, vcc, v1, 32                      // coord1.1: coord1Vgpr += d1*sg1*VW + vc1
_v_add_lshl_u32 v9, v3, v0, 0x2                    // scaleToBpe: accumulate d0 lower and *= bpe into Cin addr
/* (d1,vc1,d0,vc0)=(1,0,1,0) */
_v_add_co_u32 v10, vcc, v0, 8                      // coord0.1: coord0 += d0*sg0*VW + vc0
_v_add_lshl_u32 v16, v3, v10, 0x2                  // scaleToBpe: accumulate d0 lower and *= bpe into Cin addr
/* (d1,vc1,d0,vc0)=(1,0,2,0) */
_v_add_co_u32 v10, vcc, v0, 16                     // coord0.1: coord0 += d0*sg0*VW + vc0
_v_add_lshl_u32 v17, v3, v10, 0x2                  // scaleToBpe: accumulate d0 lower and *= bpe into Cin addr
/* (d1,vc1,d0,vc0)=(1,0,3,0) */
_v_add_co_u32 v10, vcc, v0, 24                     // coord0.1: coord0 += d0*sg0*VW + vc0
_v_add_lshl_u32 v18, v3, v10, 0x2                  // scaleToBpe: accumulate d0 lower and *= bpe into Cin addr
v_accvgpr_read_b32 v[vgprValuC+12], acc16 // copy acc to vreg[16]
v_accvgpr_read_b32 v[vgprValuC+13], acc17 // copy acc to vreg[17]
v_accvgpr_read_b32 v[vgprValuC+14], acc18 // copy acc to vreg[18]
v_accvgpr_read_b32 v[vgprValuC+15], acc19 // copy acc to vreg[19]
v_accvgpr_read_b32 v[vgprValuC+20], acc20 // copy acc to vreg[20]
v_accvgpr_read_b32 v[vgprValuC+21], acc21 // copy acc to vreg[21]
v_accvgpr_read_b32 v[vgprValuC+22], acc22 // copy acc to vreg[22]
v_accvgpr_read_b32 v[vgprValuC+23], acc23 // copy acc to vreg[23]
v_accvgpr_read_b32 v[vgprValuC+24], acc24 // copy acc to vreg[24]
v_accvgpr_read_b32 v[vgprValuC+25], acc25 // copy acc to vreg[25]
v_accvgpr_read_b32 v[vgprValuC+26], acc26 // copy acc to vreg[26]
v_accvgpr_read_b32 v[vgprValuC+27], acc27 // copy acc to vreg[27]
v_accvgpr_read_b32 v[vgprValuC+28], acc28 // copy acc to vreg[28]
v_accvgpr_read_b32 v[vgprValuC+29], acc29 // copy acc to vreg[29]
v_accvgpr_read_b32 v[vgprValuC+30], acc30 // copy acc to vreg[30]
v_accvgpr_read_b32 v[vgprValuC+31], acc31 // copy acc to vreg[31]
s_nop 1                                            // 2 wait states required before reading vgpr

/* rC *= alpha batchElements=[(1, 0, 0, 0), (1, 1, 0, 0), (1, 2, 0, 0), (1, 3, 0, 0)] */
v_mul_lo_u32 v[vgprValuC+12], s[sgprAlpha], v[vgprValuC+12] // *= alpha
v_mul_lo_u32 v[vgprValuC+13], s[sgprAlpha], v[vgprValuC+13] // *= alpha
	;; [unrolled: 1-line block ×16, first 2 shown]

/* apply mask, calc new C and issue writes */

/* StoreRemap: shift coord1 address */
s_mul_i32 s54, s[sgprStrideD1J], 128               // scale StrideD *= numRows(32) * bpe
s_add_u32  s[sgprSrdD+0], s[sgprSrdD+0], s54       // incToNextRow: gra SRD += inc(lower)
s_addc_u32  s[sgprSrdD+1], s[sgprSrdD+1], 0        // incToNextRow: gra SRD += inc(upper)
v_mov_b32 v10, 32                                  // set shift rows
_v_add_u32 v5, v5, v10                             // shift storeRemap coord1
_ds_store_b128 v7, v[12:15], offset:0              // storeRemap lw
_ds_store_b128 v7, v[20:23], offset:32             // storeRemap lw
_ds_store_b128 v7, v[24:27], offset:64             // storeRemap lw
	;; [unrolled: 1-line block ×3, first 2 shown]

/* Handle local read and global write */
s_waitcnt lgkmcnt(0)                               // wait for LDS write
s_barrier //wait all lds write finished

_ds_load_b128 v[12:15], v8, offset:0               // storeRemap lr
_ds_load_b128 v[16:19], v8, offset:1056            // storeRemap lr
_ds_load_b128 v[20:23], v8, offset:2112            // storeRemap lr
	;; [unrolled: 1-line block ×3, first 2 shown]

s_waitcnt lgkmcnt(3)                               // wait for LDS read
_v_add_u32 v11, v5, 0                              // coord1 += nColPerLoad
_v_add_u32 v10, v4, 0                              // coord0 += element index of load vector
_v_add_u32 v9, v6, 0                               // offset coord1 += nColPerLoad
v_cmp_lt_u32 s[54:55], v10, s[sgprSizeI]           // coord0 < size0
v_cmp_lt_u32 s[56:57], v11, s[sgprSizeJ]           // coord1 < size1
s_and_b64 s[56:57], s[54:55], s[56:57]             // in0 && in1
v_mul_lo_u32 v9, v9, s[sgprStrideD1J]              // coord1 element offset =  coord1 * StrideD
_v_add_lshl_u32 v9, v9, v10, 0x2                   // scale to BPE
v_cndmask_b32 v9, -1, v9, s[56:57]                 // clip if OOB. offset
_buffer_store_b32 v12, v9, s[sgprSrdD:sgprSrdD+3], 0, offen, offset:0 // store D
_v_add_u32 v11, v5, 0                              // coord1 += nColPerLoad
_v_add_u32 v10, v4, 1                              // coord0 += element index of load vector
_v_add_u32 v9, v6, 0                               // offset coord1 += nColPerLoad
v_cmp_lt_u32 s[54:55], v10, s[sgprSizeI]           // coord0 < size0
v_cmp_lt_u32 s[56:57], v11, s[sgprSizeJ]           // coord1 < size1
s_and_b64 s[56:57], s[54:55], s[56:57]             // in0 && in1
v_mul_lo_u32 v9, v9, s[sgprStrideD1J]              // coord1 element offset =  coord1 * StrideD
_v_add_lshl_u32 v9, v9, v10, 0x2                   // scale to BPE
v_cndmask_b32 v9, -1, v9, s[56:57]                 // clip if OOB. offset
_buffer_store_b32 v13, v9, s[sgprSrdD:sgprSrdD+3], 0, offen, offset:0 // store D
_v_add_u32 v11, v5, 0                              // coord1 += nColPerLoad
_v_add_u32 v10, v4, 2                              // coord0 += element index of load vector
_v_add_u32 v9, v6, 0                               // offset coord1 += nColPerLoad
v_cmp_lt_u32 s[54:55], v10, s[sgprSizeI]           // coord0 < size0
v_cmp_lt_u32 s[56:57], v11, s[sgprSizeJ]           // coord1 < size1
s_and_b64 s[56:57], s[54:55], s[56:57]             // in0 && in1
v_mul_lo_u32 v9, v9, s[sgprStrideD1J]              // coord1 element offset =  coord1 * StrideD
_v_add_lshl_u32 v9, v9, v10, 0x2                   // scale to BPE
v_cndmask_b32 v9, -1, v9, s[56:57]                 // clip if OOB. offset
_buffer_store_b32 v14, v9, s[sgprSrdD:sgprSrdD+3], 0, offen, offset:0 // store D
_v_add_u32 v11, v5, 0                              // coord1 += nColPerLoad
_v_add_u32 v10, v4, 3                              // coord0 += element index of load vector
_v_add_u32 v9, v6, 0                               // offset coord1 += nColPerLoad
v_cmp_lt_u32 s[54:55], v10, s[sgprSizeI]           // coord0 < size0
v_cmp_lt_u32 s[56:57], v11, s[sgprSizeJ]           // coord1 < size1
s_and_b64 s[56:57], s[54:55], s[56:57]             // in0 && in1
v_mul_lo_u32 v9, v9, s[sgprStrideD1J]              // coord1 element offset =  coord1 * StrideD
_v_add_lshl_u32 v9, v9, v10, 0x2                   // scale to BPE
v_cndmask_b32 v9, -1, v9, s[56:57]                 // clip if OOB. offset
_buffer_store_b32 v15, v9, s[sgprSrdD:sgprSrdD+3], 0, offen, offset:0 // store D
s_waitcnt lgkmcnt(2)                               // wait for LDS read
_v_add_u32 v11, v5, 2                              // coord1 += nColPerLoad
_v_add_u32 v10, v4, 0                              // coord0 += element index of load vector
_v_add_u32 v9, v6, 2                               // offset coord1 += nColPerLoad
v_cmp_lt_u32 s[54:55], v10, s[sgprSizeI]           // coord0 < size0
v_cmp_lt_u32 s[56:57], v11, s[sgprSizeJ]           // coord1 < size1
s_and_b64 s[56:57], s[54:55], s[56:57]             // in0 && in1
v_mul_lo_u32 v9, v9, s[sgprStrideD1J]              // coord1 element offset =  coord1 * StrideD
_v_add_lshl_u32 v9, v9, v10, 0x2                   // scale to BPE
v_cndmask_b32 v9, -1, v9, s[56:57]                 // clip if OOB. offset
_buffer_store_b32 v16, v9, s[sgprSrdD:sgprSrdD+3], 0, offen, offset:0 // store D
_v_add_u32 v11, v5, 2                              // coord1 += nColPerLoad
_v_add_u32 v10, v4, 1                              // coord0 += element index of load vector
_v_add_u32 v9, v6, 2                               // offset coord1 += nColPerLoad
v_cmp_lt_u32 s[54:55], v10, s[sgprSizeI]           // coord0 < size0
v_cmp_lt_u32 s[56:57], v11, s[sgprSizeJ]           // coord1 < size1
s_and_b64 s[56:57], s[54:55], s[56:57]             // in0 && in1
v_mul_lo_u32 v9, v9, s[sgprStrideD1J]              // coord1 element offset =  coord1 * StrideD
_v_add_lshl_u32 v9, v9, v10, 0x2                   // scale to BPE
v_cndmask_b32 v9, -1, v9, s[56:57]                 // clip if OOB. offset
_buffer_store_b32 v17, v9, s[sgprSrdD:sgprSrdD+3], 0, offen, offset:0 // store D
_v_add_u32 v11, v5, 2                              // coord1 += nColPerLoad
_v_add_u32 v10, v4, 2                              // coord0 += element index of load vector
_v_add_u32 v9, v6, 2                               // offset coord1 += nColPerLoad
v_cmp_lt_u32 s[54:55], v10, s[sgprSizeI]           // coord0 < size0
v_cmp_lt_u32 s[56:57], v11, s[sgprSizeJ]           // coord1 < size1
s_and_b64 s[56:57], s[54:55], s[56:57]             // in0 && in1
v_mul_lo_u32 v9, v9, s[sgprStrideD1J]              // coord1 element offset =  coord1 * StrideD
_v_add_lshl_u32 v9, v9, v10, 0x2                   // scale to BPE
v_cndmask_b32 v9, -1, v9, s[56:57]                 // clip if OOB. offset
_buffer_store_b32 v18, v9, s[sgprSrdD:sgprSrdD+3], 0, offen, offset:0 // store D
_v_add_u32 v11, v5, 2                              // coord1 += nColPerLoad
_v_add_u32 v10, v4, 3                              // coord0 += element index of load vector
_v_add_u32 v9, v6, 2                               // offset coord1 += nColPerLoad
v_cmp_lt_u32 s[54:55], v10, s[sgprSizeI]           // coord0 < size0
v_cmp_lt_u32 s[56:57], v11, s[sgprSizeJ]           // coord1 < size1
s_and_b64 s[56:57], s[54:55], s[56:57]             // in0 && in1
v_mul_lo_u32 v9, v9, s[sgprStrideD1J]              // coord1 element offset =  coord1 * StrideD
_v_add_lshl_u32 v9, v9, v10, 0x2                   // scale to BPE
v_cndmask_b32 v9, -1, v9, s[56:57]                 // clip if OOB. offset
_buffer_store_b32 v19, v9, s[sgprSrdD:sgprSrdD+3], 0, offen, offset:0 // store D
	;; [unrolled: 41-line block ×4, first 2 shown]

s_barrier //wait all lds read finished
s_nop 0                                            // 1 wait state required when next inst writes vgprs held by previous dwordx4 store inst
/* optSingleColVgpr=0 optSharedColVgpr=0 optSGPRUsage=BufferLoad_Edge_Mask optSrdIncForRow=1 */

/******************************************/
/* Global Write Alpha Edge Batch #2 (d1,d0,vc1,vc0) = */
/*    (2,0,0,0:vw4); (2,1,0,0:vw4); (2,2,0,0:vw4); (2,3,0,0:vw4) */
/******************************************/

/* calc coords, apply mask, and issue loads (if necessary) */
/* (d1,vc1,d0,vc0)=(2,0,0,0) */
_v_add_co_u32 v1, vcc, v1, 32                      // coord1.1: coord1Vgpr += d1*sg1*VW + vc1
_v_add_lshl_u32 v9, v3, v0, 0x2                    // scaleToBpe: accumulate d0 lower and *= bpe into Cin addr
/* (d1,vc1,d0,vc0)=(2,0,1,0) */
_v_add_co_u32 v10, vcc, v0, 8                      // coord0.1: coord0 += d0*sg0*VW + vc0
_v_add_lshl_u32 v16, v3, v10, 0x2                  // scaleToBpe: accumulate d0 lower and *= bpe into Cin addr
/* (d1,vc1,d0,vc0)=(2,0,2,0) */
_v_add_co_u32 v10, vcc, v0, 16                     // coord0.1: coord0 += d0*sg0*VW + vc0
_v_add_lshl_u32 v17, v3, v10, 0x2                  // scaleToBpe: accumulate d0 lower and *= bpe into Cin addr
/* (d1,vc1,d0,vc0)=(2,0,3,0) */
_v_add_co_u32 v10, vcc, v0, 24                     // coord0.1: coord0 += d0*sg0*VW + vc0
_v_add_lshl_u32 v18, v3, v10, 0x2                  // scaleToBpe: accumulate d0 lower and *= bpe into Cin addr
v_accvgpr_read_b32 v[vgprValuC+12], acc32 // copy acc to vreg[32]
v_accvgpr_read_b32 v[vgprValuC+13], acc33 // copy acc to vreg[33]
v_accvgpr_read_b32 v[vgprValuC+14], acc34 // copy acc to vreg[34]
v_accvgpr_read_b32 v[vgprValuC+15], acc35 // copy acc to vreg[35]
v_accvgpr_read_b32 v[vgprValuC+20], acc36 // copy acc to vreg[36]
v_accvgpr_read_b32 v[vgprValuC+21], acc37 // copy acc to vreg[37]
v_accvgpr_read_b32 v[vgprValuC+22], acc38 // copy acc to vreg[38]
v_accvgpr_read_b32 v[vgprValuC+23], acc39 // copy acc to vreg[39]
v_accvgpr_read_b32 v[vgprValuC+24], acc40 // copy acc to vreg[40]
v_accvgpr_read_b32 v[vgprValuC+25], acc41 // copy acc to vreg[41]
v_accvgpr_read_b32 v[vgprValuC+26], acc42 // copy acc to vreg[42]
v_accvgpr_read_b32 v[vgprValuC+27], acc43 // copy acc to vreg[43]
v_accvgpr_read_b32 v[vgprValuC+28], acc44 // copy acc to vreg[44]
v_accvgpr_read_b32 v[vgprValuC+29], acc45 // copy acc to vreg[45]
v_accvgpr_read_b32 v[vgprValuC+30], acc46 // copy acc to vreg[46]
v_accvgpr_read_b32 v[vgprValuC+31], acc47 // copy acc to vreg[47]
s_nop 1                                            // 2 wait states required before reading vgpr

/* rC *= alpha batchElements=[(2, 0, 0, 0), (2, 1, 0, 0), (2, 2, 0, 0), (2, 3, 0, 0)] */
v_mul_lo_u32 v[vgprValuC+12], s[sgprAlpha], v[vgprValuC+12] // *= alpha
v_mul_lo_u32 v[vgprValuC+13], s[sgprAlpha], v[vgprValuC+13] // *= alpha
	;; [unrolled: 1-line block ×16, first 2 shown]

/* apply mask, calc new C and issue writes */

/* StoreRemap: shift coord1 address */
s_mul_i32 s54, s[sgprStrideD1J], 128               // scale StrideD *= numRows(32) * bpe
s_add_u32  s[sgprSrdD+0], s[sgprSrdD+0], s54       // incToNextRow: gra SRD += inc(lower)
s_addc_u32  s[sgprSrdD+1], s[sgprSrdD+1], 0        // incToNextRow: gra SRD += inc(upper)
v_mov_b32 v10, 32                                  // set shift rows
_v_add_u32 v5, v5, v10                             // shift storeRemap coord1
_ds_store_b128 v7, v[12:15], offset:0              // storeRemap lw
_ds_store_b128 v7, v[20:23], offset:32             // storeRemap lw
_ds_store_b128 v7, v[24:27], offset:64             // storeRemap lw
	;; [unrolled: 1-line block ×3, first 2 shown]

/* Handle local read and global write */
s_waitcnt lgkmcnt(0)                               // wait for LDS write
s_barrier //wait all lds write finished

_ds_load_b128 v[12:15], v8, offset:0               // storeRemap lr
_ds_load_b128 v[16:19], v8, offset:1056            // storeRemap lr
_ds_load_b128 v[20:23], v8, offset:2112            // storeRemap lr
	;; [unrolled: 1-line block ×3, first 2 shown]

s_waitcnt lgkmcnt(3)                               // wait for LDS read
_v_add_u32 v11, v5, 0                              // coord1 += nColPerLoad
_v_add_u32 v10, v4, 0                              // coord0 += element index of load vector
_v_add_u32 v9, v6, 0                               // offset coord1 += nColPerLoad
v_cmp_lt_u32 s[54:55], v10, s[sgprSizeI]           // coord0 < size0
v_cmp_lt_u32 s[56:57], v11, s[sgprSizeJ]           // coord1 < size1
s_and_b64 s[56:57], s[54:55], s[56:57]             // in0 && in1
v_mul_lo_u32 v9, v9, s[sgprStrideD1J]              // coord1 element offset =  coord1 * StrideD
_v_add_lshl_u32 v9, v9, v10, 0x2                   // scale to BPE
v_cndmask_b32 v9, -1, v9, s[56:57]                 // clip if OOB. offset
_buffer_store_b32 v12, v9, s[sgprSrdD:sgprSrdD+3], 0, offen, offset:0 // store D
_v_add_u32 v11, v5, 0                              // coord1 += nColPerLoad
_v_add_u32 v10, v4, 1                              // coord0 += element index of load vector
_v_add_u32 v9, v6, 0                               // offset coord1 += nColPerLoad
v_cmp_lt_u32 s[54:55], v10, s[sgprSizeI]           // coord0 < size0
v_cmp_lt_u32 s[56:57], v11, s[sgprSizeJ]           // coord1 < size1
s_and_b64 s[56:57], s[54:55], s[56:57]             // in0 && in1
v_mul_lo_u32 v9, v9, s[sgprStrideD1J]              // coord1 element offset =  coord1 * StrideD
_v_add_lshl_u32 v9, v9, v10, 0x2                   // scale to BPE
v_cndmask_b32 v9, -1, v9, s[56:57]                 // clip if OOB. offset
_buffer_store_b32 v13, v9, s[sgprSrdD:sgprSrdD+3], 0, offen, offset:0 // store D
_v_add_u32 v11, v5, 0                              // coord1 += nColPerLoad
_v_add_u32 v10, v4, 2                              // coord0 += element index of load vector
_v_add_u32 v9, v6, 0                               // offset coord1 += nColPerLoad
v_cmp_lt_u32 s[54:55], v10, s[sgprSizeI]           // coord0 < size0
v_cmp_lt_u32 s[56:57], v11, s[sgprSizeJ]           // coord1 < size1
s_and_b64 s[56:57], s[54:55], s[56:57]             // in0 && in1
v_mul_lo_u32 v9, v9, s[sgprStrideD1J]              // coord1 element offset =  coord1 * StrideD
_v_add_lshl_u32 v9, v9, v10, 0x2                   // scale to BPE
v_cndmask_b32 v9, -1, v9, s[56:57]                 // clip if OOB. offset
_buffer_store_b32 v14, v9, s[sgprSrdD:sgprSrdD+3], 0, offen, offset:0 // store D
_v_add_u32 v11, v5, 0                              // coord1 += nColPerLoad
_v_add_u32 v10, v4, 3                              // coord0 += element index of load vector
_v_add_u32 v9, v6, 0                               // offset coord1 += nColPerLoad
v_cmp_lt_u32 s[54:55], v10, s[sgprSizeI]           // coord0 < size0
v_cmp_lt_u32 s[56:57], v11, s[sgprSizeJ]           // coord1 < size1
s_and_b64 s[56:57], s[54:55], s[56:57]             // in0 && in1
v_mul_lo_u32 v9, v9, s[sgprStrideD1J]              // coord1 element offset =  coord1 * StrideD
_v_add_lshl_u32 v9, v9, v10, 0x2                   // scale to BPE
v_cndmask_b32 v9, -1, v9, s[56:57]                 // clip if OOB. offset
_buffer_store_b32 v15, v9, s[sgprSrdD:sgprSrdD+3], 0, offen, offset:0 // store D
s_waitcnt lgkmcnt(2)                               // wait for LDS read
_v_add_u32 v11, v5, 2                              // coord1 += nColPerLoad
_v_add_u32 v10, v4, 0                              // coord0 += element index of load vector
_v_add_u32 v9, v6, 2                               // offset coord1 += nColPerLoad
v_cmp_lt_u32 s[54:55], v10, s[sgprSizeI]           // coord0 < size0
v_cmp_lt_u32 s[56:57], v11, s[sgprSizeJ]           // coord1 < size1
s_and_b64 s[56:57], s[54:55], s[56:57]             // in0 && in1
v_mul_lo_u32 v9, v9, s[sgprStrideD1J]              // coord1 element offset =  coord1 * StrideD
_v_add_lshl_u32 v9, v9, v10, 0x2                   // scale to BPE
v_cndmask_b32 v9, -1, v9, s[56:57]                 // clip if OOB. offset
_buffer_store_b32 v16, v9, s[sgprSrdD:sgprSrdD+3], 0, offen, offset:0 // store D
_v_add_u32 v11, v5, 2                              // coord1 += nColPerLoad
_v_add_u32 v10, v4, 1                              // coord0 += element index of load vector
_v_add_u32 v9, v6, 2                               // offset coord1 += nColPerLoad
v_cmp_lt_u32 s[54:55], v10, s[sgprSizeI]           // coord0 < size0
v_cmp_lt_u32 s[56:57], v11, s[sgprSizeJ]           // coord1 < size1
s_and_b64 s[56:57], s[54:55], s[56:57]             // in0 && in1
v_mul_lo_u32 v9, v9, s[sgprStrideD1J]              // coord1 element offset =  coord1 * StrideD
_v_add_lshl_u32 v9, v9, v10, 0x2                   // scale to BPE
v_cndmask_b32 v9, -1, v9, s[56:57]                 // clip if OOB. offset
_buffer_store_b32 v17, v9, s[sgprSrdD:sgprSrdD+3], 0, offen, offset:0 // store D
_v_add_u32 v11, v5, 2                              // coord1 += nColPerLoad
_v_add_u32 v10, v4, 2                              // coord0 += element index of load vector
_v_add_u32 v9, v6, 2                               // offset coord1 += nColPerLoad
v_cmp_lt_u32 s[54:55], v10, s[sgprSizeI]           // coord0 < size0
v_cmp_lt_u32 s[56:57], v11, s[sgprSizeJ]           // coord1 < size1
s_and_b64 s[56:57], s[54:55], s[56:57]             // in0 && in1
v_mul_lo_u32 v9, v9, s[sgprStrideD1J]              // coord1 element offset =  coord1 * StrideD
_v_add_lshl_u32 v9, v9, v10, 0x2                   // scale to BPE
v_cndmask_b32 v9, -1, v9, s[56:57]                 // clip if OOB. offset
_buffer_store_b32 v18, v9, s[sgprSrdD:sgprSrdD+3], 0, offen, offset:0 // store D
_v_add_u32 v11, v5, 2                              // coord1 += nColPerLoad
_v_add_u32 v10, v4, 3                              // coord0 += element index of load vector
_v_add_u32 v9, v6, 2                               // offset coord1 += nColPerLoad
v_cmp_lt_u32 s[54:55], v10, s[sgprSizeI]           // coord0 < size0
v_cmp_lt_u32 s[56:57], v11, s[sgprSizeJ]           // coord1 < size1
s_and_b64 s[56:57], s[54:55], s[56:57]             // in0 && in1
v_mul_lo_u32 v9, v9, s[sgprStrideD1J]              // coord1 element offset =  coord1 * StrideD
_v_add_lshl_u32 v9, v9, v10, 0x2                   // scale to BPE
v_cndmask_b32 v9, -1, v9, s[56:57]                 // clip if OOB. offset
_buffer_store_b32 v19, v9, s[sgprSrdD:sgprSrdD+3], 0, offen, offset:0 // store D
	;; [unrolled: 41-line block ×4, first 2 shown]

s_barrier //wait all lds read finished
s_nop 0                                            // 1 wait state required when next inst writes vgprs held by previous dwordx4 store inst
/* optSingleColVgpr=0 optSharedColVgpr=0 optSGPRUsage=BufferLoad_Edge_Mask optSrdIncForRow=1 */

/******************************************/
/* Global Write Alpha Edge Batch #3 (d1,d0,vc1,vc0) = */
/*    (3,0,0,0:vw4); (3,1,0,0:vw4); (3,2,0,0:vw4); (3,3,0,0:vw4) */
/******************************************/

/* calc coords, apply mask, and issue loads (if necessary) */
/* (d1,vc1,d0,vc0)=(3,0,0,0) */
_v_add_co_u32 v1, vcc, v1, 32                      // coord1.1: coord1Vgpr += d1*sg1*VW + vc1
_v_add_lshl_u32 v9, v3, v0, 0x2                    // scaleToBpe: accumulate d0 lower and *= bpe into Cin addr
/* (d1,vc1,d0,vc0)=(3,0,1,0) */
_v_add_co_u32 v10, vcc, v0, 8                      // coord0.1: coord0 += d0*sg0*VW + vc0
_v_add_lshl_u32 v16, v3, v10, 0x2                  // scaleToBpe: accumulate d0 lower and *= bpe into Cin addr
/* (d1,vc1,d0,vc0)=(3,0,2,0) */
_v_add_co_u32 v10, vcc, v0, 16                     // coord0.1: coord0 += d0*sg0*VW + vc0
_v_add_lshl_u32 v17, v3, v10, 0x2                  // scaleToBpe: accumulate d0 lower and *= bpe into Cin addr
/* (d1,vc1,d0,vc0)=(3,0,3,0) */
_v_add_co_u32 v10, vcc, v0, 24                     // coord0.1: coord0 += d0*sg0*VW + vc0
_v_add_lshl_u32 v18, v3, v10, 0x2                  // scaleToBpe: accumulate d0 lower and *= bpe into Cin addr
v_accvgpr_read_b32 v[vgprValuC+12], acc48 // copy acc to vreg[48]
v_accvgpr_read_b32 v[vgprValuC+13], acc49 // copy acc to vreg[49]
v_accvgpr_read_b32 v[vgprValuC+14], acc50 // copy acc to vreg[50]
v_accvgpr_read_b32 v[vgprValuC+15], acc51 // copy acc to vreg[51]
v_accvgpr_read_b32 v[vgprValuC+20], acc52 // copy acc to vreg[52]
v_accvgpr_read_b32 v[vgprValuC+21], acc53 // copy acc to vreg[53]
v_accvgpr_read_b32 v[vgprValuC+22], acc54 // copy acc to vreg[54]
v_accvgpr_read_b32 v[vgprValuC+23], acc55 // copy acc to vreg[55]
v_accvgpr_read_b32 v[vgprValuC+24], acc56 // copy acc to vreg[56]
v_accvgpr_read_b32 v[vgprValuC+25], acc57 // copy acc to vreg[57]
v_accvgpr_read_b32 v[vgprValuC+26], acc58 // copy acc to vreg[58]
v_accvgpr_read_b32 v[vgprValuC+27], acc59 // copy acc to vreg[59]
v_accvgpr_read_b32 v[vgprValuC+28], acc60 // copy acc to vreg[60]
v_accvgpr_read_b32 v[vgprValuC+29], acc61 // copy acc to vreg[61]
v_accvgpr_read_b32 v[vgprValuC+30], acc62 // copy acc to vreg[62]
v_accvgpr_read_b32 v[vgprValuC+31], acc63 // copy acc to vreg[63]
s_nop 1                                            // 2 wait states required before reading vgpr

/* rC *= alpha batchElements=[(3, 0, 0, 0), (3, 1, 0, 0), (3, 2, 0, 0), (3, 3, 0, 0)] */
v_mul_lo_u32 v[vgprValuC+12], s[sgprAlpha], v[vgprValuC+12] // *= alpha
v_mul_lo_u32 v[vgprValuC+13], s[sgprAlpha], v[vgprValuC+13] // *= alpha
	;; [unrolled: 1-line block ×16, first 2 shown]

/* apply mask, calc new C and issue writes */

/* StoreRemap: shift coord1 address */
s_mul_i32 s54, s[sgprStrideD1J], 128               // scale StrideD *= numRows(32) * bpe
s_add_u32  s[sgprSrdD+0], s[sgprSrdD+0], s54       // incToNextRow: gra SRD += inc(lower)
s_addc_u32  s[sgprSrdD+1], s[sgprSrdD+1], 0        // incToNextRow: gra SRD += inc(upper)
v_mov_b32 v10, 32                                  // set shift rows
_v_add_u32 v5, v5, v10                             // shift storeRemap coord1
_ds_store_b128 v7, v[12:15], offset:0              // storeRemap lw
_ds_store_b128 v7, v[20:23], offset:32             // storeRemap lw
_ds_store_b128 v7, v[24:27], offset:64             // storeRemap lw
	;; [unrolled: 1-line block ×3, first 2 shown]

/* Handle local read and global write */
s_waitcnt lgkmcnt(0)                               // wait for LDS write
s_barrier //wait all lds write finished

_ds_load_b128 v[12:15], v8, offset:0               // storeRemap lr
_ds_load_b128 v[16:19], v8, offset:1056            // storeRemap lr
_ds_load_b128 v[20:23], v8, offset:2112            // storeRemap lr
	;; [unrolled: 1-line block ×3, first 2 shown]

s_waitcnt lgkmcnt(3)                               // wait for LDS read
_v_add_u32 v11, v5, 0                              // coord1 += nColPerLoad
_v_add_u32 v10, v4, 0                              // coord0 += element index of load vector
_v_add_u32 v9, v6, 0                               // offset coord1 += nColPerLoad
v_cmp_lt_u32 s[54:55], v10, s[sgprSizeI]           // coord0 < size0
v_cmp_lt_u32 s[56:57], v11, s[sgprSizeJ]           // coord1 < size1
s_and_b64 s[56:57], s[54:55], s[56:57]             // in0 && in1
v_mul_lo_u32 v9, v9, s[sgprStrideD1J]              // coord1 element offset =  coord1 * StrideD
_v_add_lshl_u32 v9, v9, v10, 0x2                   // scale to BPE
v_cndmask_b32 v9, -1, v9, s[56:57]                 // clip if OOB. offset
_buffer_store_b32 v12, v9, s[sgprSrdD:sgprSrdD+3], 0, offen, offset:0 // store D
_v_add_u32 v11, v5, 0                              // coord1 += nColPerLoad
_v_add_u32 v10, v4, 1                              // coord0 += element index of load vector
_v_add_u32 v9, v6, 0                               // offset coord1 += nColPerLoad
v_cmp_lt_u32 s[54:55], v10, s[sgprSizeI]           // coord0 < size0
v_cmp_lt_u32 s[56:57], v11, s[sgprSizeJ]           // coord1 < size1
s_and_b64 s[56:57], s[54:55], s[56:57]             // in0 && in1
v_mul_lo_u32 v9, v9, s[sgprStrideD1J]              // coord1 element offset =  coord1 * StrideD
_v_add_lshl_u32 v9, v9, v10, 0x2                   // scale to BPE
v_cndmask_b32 v9, -1, v9, s[56:57]                 // clip if OOB. offset
_buffer_store_b32 v13, v9, s[sgprSrdD:sgprSrdD+3], 0, offen, offset:0 // store D
_v_add_u32 v11, v5, 0                              // coord1 += nColPerLoad
_v_add_u32 v10, v4, 2                              // coord0 += element index of load vector
_v_add_u32 v9, v6, 0                               // offset coord1 += nColPerLoad
v_cmp_lt_u32 s[54:55], v10, s[sgprSizeI]           // coord0 < size0
v_cmp_lt_u32 s[56:57], v11, s[sgprSizeJ]           // coord1 < size1
s_and_b64 s[56:57], s[54:55], s[56:57]             // in0 && in1
v_mul_lo_u32 v9, v9, s[sgprStrideD1J]              // coord1 element offset =  coord1 * StrideD
_v_add_lshl_u32 v9, v9, v10, 0x2                   // scale to BPE
v_cndmask_b32 v9, -1, v9, s[56:57]                 // clip if OOB. offset
_buffer_store_b32 v14, v9, s[sgprSrdD:sgprSrdD+3], 0, offen, offset:0 // store D
_v_add_u32 v11, v5, 0                              // coord1 += nColPerLoad
_v_add_u32 v10, v4, 3                              // coord0 += element index of load vector
_v_add_u32 v9, v6, 0                               // offset coord1 += nColPerLoad
v_cmp_lt_u32 s[54:55], v10, s[sgprSizeI]           // coord0 < size0
v_cmp_lt_u32 s[56:57], v11, s[sgprSizeJ]           // coord1 < size1
s_and_b64 s[56:57], s[54:55], s[56:57]             // in0 && in1
v_mul_lo_u32 v9, v9, s[sgprStrideD1J]              // coord1 element offset =  coord1 * StrideD
_v_add_lshl_u32 v9, v9, v10, 0x2                   // scale to BPE
v_cndmask_b32 v9, -1, v9, s[56:57]                 // clip if OOB. offset
_buffer_store_b32 v15, v9, s[sgprSrdD:sgprSrdD+3], 0, offen, offset:0 // store D
s_waitcnt lgkmcnt(2)                               // wait for LDS read
_v_add_u32 v11, v5, 2                              // coord1 += nColPerLoad
_v_add_u32 v10, v4, 0                              // coord0 += element index of load vector
_v_add_u32 v9, v6, 2                               // offset coord1 += nColPerLoad
v_cmp_lt_u32 s[54:55], v10, s[sgprSizeI]           // coord0 < size0
v_cmp_lt_u32 s[56:57], v11, s[sgprSizeJ]           // coord1 < size1
s_and_b64 s[56:57], s[54:55], s[56:57]             // in0 && in1
v_mul_lo_u32 v9, v9, s[sgprStrideD1J]              // coord1 element offset =  coord1 * StrideD
_v_add_lshl_u32 v9, v9, v10, 0x2                   // scale to BPE
v_cndmask_b32 v9, -1, v9, s[56:57]                 // clip if OOB. offset
_buffer_store_b32 v16, v9, s[sgprSrdD:sgprSrdD+3], 0, offen, offset:0 // store D
_v_add_u32 v11, v5, 2                              // coord1 += nColPerLoad
_v_add_u32 v10, v4, 1                              // coord0 += element index of load vector
_v_add_u32 v9, v6, 2                               // offset coord1 += nColPerLoad
v_cmp_lt_u32 s[54:55], v10, s[sgprSizeI]           // coord0 < size0
v_cmp_lt_u32 s[56:57], v11, s[sgprSizeJ]           // coord1 < size1
s_and_b64 s[56:57], s[54:55], s[56:57]             // in0 && in1
v_mul_lo_u32 v9, v9, s[sgprStrideD1J]              // coord1 element offset =  coord1 * StrideD
_v_add_lshl_u32 v9, v9, v10, 0x2                   // scale to BPE
v_cndmask_b32 v9, -1, v9, s[56:57]                 // clip if OOB. offset
_buffer_store_b32 v17, v9, s[sgprSrdD:sgprSrdD+3], 0, offen, offset:0 // store D
_v_add_u32 v11, v5, 2                              // coord1 += nColPerLoad
_v_add_u32 v10, v4, 2                              // coord0 += element index of load vector
_v_add_u32 v9, v6, 2                               // offset coord1 += nColPerLoad
v_cmp_lt_u32 s[54:55], v10, s[sgprSizeI]           // coord0 < size0
v_cmp_lt_u32 s[56:57], v11, s[sgprSizeJ]           // coord1 < size1
s_and_b64 s[56:57], s[54:55], s[56:57]             // in0 && in1
v_mul_lo_u32 v9, v9, s[sgprStrideD1J]              // coord1 element offset =  coord1 * StrideD
_v_add_lshl_u32 v9, v9, v10, 0x2                   // scale to BPE
v_cndmask_b32 v9, -1, v9, s[56:57]                 // clip if OOB. offset
_buffer_store_b32 v18, v9, s[sgprSrdD:sgprSrdD+3], 0, offen, offset:0 // store D
_v_add_u32 v11, v5, 2                              // coord1 += nColPerLoad
_v_add_u32 v10, v4, 3                              // coord0 += element index of load vector
_v_add_u32 v9, v6, 2                               // offset coord1 += nColPerLoad
v_cmp_lt_u32 s[54:55], v10, s[sgprSizeI]           // coord0 < size0
v_cmp_lt_u32 s[56:57], v11, s[sgprSizeJ]           // coord1 < size1
s_and_b64 s[56:57], s[54:55], s[56:57]             // in0 && in1
v_mul_lo_u32 v9, v9, s[sgprStrideD1J]              // coord1 element offset =  coord1 * StrideD
_v_add_lshl_u32 v9, v9, v10, 0x2                   // scale to BPE
v_cndmask_b32 v9, -1, v9, s[56:57]                 // clip if OOB. offset
_buffer_store_b32 v19, v9, s[sgprSrdD:sgprSrdD+3], 0, offen, offset:0 // store D
	;; [unrolled: 41-line block ×4, first 2 shown]

s_barrier //wait all lds read finished
s_nop 0                                            // 1 wait state required when next inst writes vgprs held by previous dwordx4 store inst
/* optSingleColVgpr=0 optSharedColVgpr=0 optSGPRUsage=BufferLoad_Edge_Mask optSrdIncForRow=1 */

/******************************************/
/* Global Write Alpha Edge Batch #4 (d1,d0,vc1,vc0) = */
/*    (4,0,0,0:vw4); (4,1,0,0:vw4); (4,2,0,0:vw4); (4,3,0,0:vw4) */
/******************************************/

/* calc coords, apply mask, and issue loads (if necessary) */
/* (d1,vc1,d0,vc0)=(4,0,0,0) */
_v_add_co_u32 v1, vcc, v1, 32                      // coord1.1: coord1Vgpr += d1*sg1*VW + vc1
_v_add_lshl_u32 v9, v3, v0, 0x2                    // scaleToBpe: accumulate d0 lower and *= bpe into Cin addr
/* (d1,vc1,d0,vc0)=(4,0,1,0) */
_v_add_co_u32 v10, vcc, v0, 8                      // coord0.1: coord0 += d0*sg0*VW + vc0
_v_add_lshl_u32 v16, v3, v10, 0x2                  // scaleToBpe: accumulate d0 lower and *= bpe into Cin addr
/* (d1,vc1,d0,vc0)=(4,0,2,0) */
_v_add_co_u32 v10, vcc, v0, 16                     // coord0.1: coord0 += d0*sg0*VW + vc0
_v_add_lshl_u32 v17, v3, v10, 0x2                  // scaleToBpe: accumulate d0 lower and *= bpe into Cin addr
/* (d1,vc1,d0,vc0)=(4,0,3,0) */
_v_add_co_u32 v10, vcc, v0, 24                     // coord0.1: coord0 += d0*sg0*VW + vc0
_v_add_lshl_u32 v18, v3, v10, 0x2                  // scaleToBpe: accumulate d0 lower and *= bpe into Cin addr
v_accvgpr_read_b32 v[vgprValuC+12], acc64 // copy acc to vreg[64]
v_accvgpr_read_b32 v[vgprValuC+13], acc65 // copy acc to vreg[65]
v_accvgpr_read_b32 v[vgprValuC+14], acc66 // copy acc to vreg[66]
v_accvgpr_read_b32 v[vgprValuC+15], acc67 // copy acc to vreg[67]
v_accvgpr_read_b32 v[vgprValuC+20], acc68 // copy acc to vreg[68]
v_accvgpr_read_b32 v[vgprValuC+21], acc69 // copy acc to vreg[69]
v_accvgpr_read_b32 v[vgprValuC+22], acc70 // copy acc to vreg[70]
v_accvgpr_read_b32 v[vgprValuC+23], acc71 // copy acc to vreg[71]
v_accvgpr_read_b32 v[vgprValuC+24], acc72 // copy acc to vreg[72]
v_accvgpr_read_b32 v[vgprValuC+25], acc73 // copy acc to vreg[73]
v_accvgpr_read_b32 v[vgprValuC+26], acc74 // copy acc to vreg[74]
v_accvgpr_read_b32 v[vgprValuC+27], acc75 // copy acc to vreg[75]
v_accvgpr_read_b32 v[vgprValuC+28], acc76 // copy acc to vreg[76]
v_accvgpr_read_b32 v[vgprValuC+29], acc77 // copy acc to vreg[77]
v_accvgpr_read_b32 v[vgprValuC+30], acc78 // copy acc to vreg[78]
v_accvgpr_read_b32 v[vgprValuC+31], acc79 // copy acc to vreg[79]
s_nop 1                                            // 2 wait states required before reading vgpr

/* rC *= alpha batchElements=[(4, 0, 0, 0), (4, 1, 0, 0), (4, 2, 0, 0), (4, 3, 0, 0)] */
v_mul_lo_u32 v[vgprValuC+12], s[sgprAlpha], v[vgprValuC+12] // *= alpha
v_mul_lo_u32 v[vgprValuC+13], s[sgprAlpha], v[vgprValuC+13] // *= alpha
	;; [unrolled: 1-line block ×16, first 2 shown]

/* apply mask, calc new C and issue writes */

/* StoreRemap: shift coord1 address */
s_mul_i32 s54, s[sgprStrideD1J], 128               // scale StrideD *= numRows(32) * bpe
s_add_u32  s[sgprSrdD+0], s[sgprSrdD+0], s54       // incToNextRow: gra SRD += inc(lower)
s_addc_u32  s[sgprSrdD+1], s[sgprSrdD+1], 0        // incToNextRow: gra SRD += inc(upper)
v_mov_b32 v10, 32                                  // set shift rows
_v_add_u32 v5, v5, v10                             // shift storeRemap coord1
_ds_store_b128 v7, v[12:15], offset:0              // storeRemap lw
_ds_store_b128 v7, v[20:23], offset:32             // storeRemap lw
_ds_store_b128 v7, v[24:27], offset:64             // storeRemap lw
_ds_store_b128 v7, v[28:31], offset:96             // storeRemap lw

/* Handle local read and global write */
s_waitcnt lgkmcnt(0)                               // wait for LDS write
s_barrier //wait all lds write finished

_ds_load_b128 v[12:15], v8, offset:0               // storeRemap lr
_ds_load_b128 v[16:19], v8, offset:1056            // storeRemap lr
_ds_load_b128 v[20:23], v8, offset:2112            // storeRemap lr
	;; [unrolled: 1-line block ×3, first 2 shown]

s_waitcnt lgkmcnt(3)                               // wait for LDS read
_v_add_u32 v11, v5, 0                              // coord1 += nColPerLoad
_v_add_u32 v10, v4, 0                              // coord0 += element index of load vector
_v_add_u32 v9, v6, 0                               // offset coord1 += nColPerLoad
v_cmp_lt_u32 s[54:55], v10, s[sgprSizeI]           // coord0 < size0
v_cmp_lt_u32 s[56:57], v11, s[sgprSizeJ]           // coord1 < size1
s_and_b64 s[56:57], s[54:55], s[56:57]             // in0 && in1
v_mul_lo_u32 v9, v9, s[sgprStrideD1J]              // coord1 element offset =  coord1 * StrideD
_v_add_lshl_u32 v9, v9, v10, 0x2                   // scale to BPE
v_cndmask_b32 v9, -1, v9, s[56:57]                 // clip if OOB. offset
_buffer_store_b32 v12, v9, s[sgprSrdD:sgprSrdD+3], 0, offen, offset:0 // store D
_v_add_u32 v11, v5, 0                              // coord1 += nColPerLoad
_v_add_u32 v10, v4, 1                              // coord0 += element index of load vector
_v_add_u32 v9, v6, 0                               // offset coord1 += nColPerLoad
v_cmp_lt_u32 s[54:55], v10, s[sgprSizeI]           // coord0 < size0
v_cmp_lt_u32 s[56:57], v11, s[sgprSizeJ]           // coord1 < size1
s_and_b64 s[56:57], s[54:55], s[56:57]             // in0 && in1
v_mul_lo_u32 v9, v9, s[sgprStrideD1J]              // coord1 element offset =  coord1 * StrideD
_v_add_lshl_u32 v9, v9, v10, 0x2                   // scale to BPE
v_cndmask_b32 v9, -1, v9, s[56:57]                 // clip if OOB. offset
_buffer_store_b32 v13, v9, s[sgprSrdD:sgprSrdD+3], 0, offen, offset:0 // store D
_v_add_u32 v11, v5, 0                              // coord1 += nColPerLoad
_v_add_u32 v10, v4, 2                              // coord0 += element index of load vector
_v_add_u32 v9, v6, 0                               // offset coord1 += nColPerLoad
v_cmp_lt_u32 s[54:55], v10, s[sgprSizeI]           // coord0 < size0
v_cmp_lt_u32 s[56:57], v11, s[sgprSizeJ]           // coord1 < size1
s_and_b64 s[56:57], s[54:55], s[56:57]             // in0 && in1
v_mul_lo_u32 v9, v9, s[sgprStrideD1J]              // coord1 element offset =  coord1 * StrideD
_v_add_lshl_u32 v9, v9, v10, 0x2                   // scale to BPE
v_cndmask_b32 v9, -1, v9, s[56:57]                 // clip if OOB. offset
_buffer_store_b32 v14, v9, s[sgprSrdD:sgprSrdD+3], 0, offen, offset:0 // store D
_v_add_u32 v11, v5, 0                              // coord1 += nColPerLoad
_v_add_u32 v10, v4, 3                              // coord0 += element index of load vector
_v_add_u32 v9, v6, 0                               // offset coord1 += nColPerLoad
v_cmp_lt_u32 s[54:55], v10, s[sgprSizeI]           // coord0 < size0
v_cmp_lt_u32 s[56:57], v11, s[sgprSizeJ]           // coord1 < size1
s_and_b64 s[56:57], s[54:55], s[56:57]             // in0 && in1
v_mul_lo_u32 v9, v9, s[sgprStrideD1J]              // coord1 element offset =  coord1 * StrideD
_v_add_lshl_u32 v9, v9, v10, 0x2                   // scale to BPE
v_cndmask_b32 v9, -1, v9, s[56:57]                 // clip if OOB. offset
_buffer_store_b32 v15, v9, s[sgprSrdD:sgprSrdD+3], 0, offen, offset:0 // store D
s_waitcnt lgkmcnt(2)                               // wait for LDS read
_v_add_u32 v11, v5, 2                              // coord1 += nColPerLoad
_v_add_u32 v10, v4, 0                              // coord0 += element index of load vector
_v_add_u32 v9, v6, 2                               // offset coord1 += nColPerLoad
v_cmp_lt_u32 s[54:55], v10, s[sgprSizeI]           // coord0 < size0
v_cmp_lt_u32 s[56:57], v11, s[sgprSizeJ]           // coord1 < size1
s_and_b64 s[56:57], s[54:55], s[56:57]             // in0 && in1
v_mul_lo_u32 v9, v9, s[sgprStrideD1J]              // coord1 element offset =  coord1 * StrideD
_v_add_lshl_u32 v9, v9, v10, 0x2                   // scale to BPE
v_cndmask_b32 v9, -1, v9, s[56:57]                 // clip if OOB. offset
_buffer_store_b32 v16, v9, s[sgprSrdD:sgprSrdD+3], 0, offen, offset:0 // store D
_v_add_u32 v11, v5, 2                              // coord1 += nColPerLoad
_v_add_u32 v10, v4, 1                              // coord0 += element index of load vector
_v_add_u32 v9, v6, 2                               // offset coord1 += nColPerLoad
v_cmp_lt_u32 s[54:55], v10, s[sgprSizeI]           // coord0 < size0
v_cmp_lt_u32 s[56:57], v11, s[sgprSizeJ]           // coord1 < size1
s_and_b64 s[56:57], s[54:55], s[56:57]             // in0 && in1
v_mul_lo_u32 v9, v9, s[sgprStrideD1J]              // coord1 element offset =  coord1 * StrideD
_v_add_lshl_u32 v9, v9, v10, 0x2                   // scale to BPE
v_cndmask_b32 v9, -1, v9, s[56:57]                 // clip if OOB. offset
_buffer_store_b32 v17, v9, s[sgprSrdD:sgprSrdD+3], 0, offen, offset:0 // store D
_v_add_u32 v11, v5, 2                              // coord1 += nColPerLoad
_v_add_u32 v10, v4, 2                              // coord0 += element index of load vector
_v_add_u32 v9, v6, 2                               // offset coord1 += nColPerLoad
v_cmp_lt_u32 s[54:55], v10, s[sgprSizeI]           // coord0 < size0
v_cmp_lt_u32 s[56:57], v11, s[sgprSizeJ]           // coord1 < size1
s_and_b64 s[56:57], s[54:55], s[56:57]             // in0 && in1
v_mul_lo_u32 v9, v9, s[sgprStrideD1J]              // coord1 element offset =  coord1 * StrideD
_v_add_lshl_u32 v9, v9, v10, 0x2                   // scale to BPE
v_cndmask_b32 v9, -1, v9, s[56:57]                 // clip if OOB. offset
_buffer_store_b32 v18, v9, s[sgprSrdD:sgprSrdD+3], 0, offen, offset:0 // store D
_v_add_u32 v11, v5, 2                              // coord1 += nColPerLoad
_v_add_u32 v10, v4, 3                              // coord0 += element index of load vector
_v_add_u32 v9, v6, 2                               // offset coord1 += nColPerLoad
v_cmp_lt_u32 s[54:55], v10, s[sgprSizeI]           // coord0 < size0
v_cmp_lt_u32 s[56:57], v11, s[sgprSizeJ]           // coord1 < size1
s_and_b64 s[56:57], s[54:55], s[56:57]             // in0 && in1
v_mul_lo_u32 v9, v9, s[sgprStrideD1J]              // coord1 element offset =  coord1 * StrideD
_v_add_lshl_u32 v9, v9, v10, 0x2                   // scale to BPE
v_cndmask_b32 v9, -1, v9, s[56:57]                 // clip if OOB. offset
_buffer_store_b32 v19, v9, s[sgprSrdD:sgprSrdD+3], 0, offen, offset:0 // store D
	;; [unrolled: 41-line block ×4, first 2 shown]

s_barrier //wait all lds read finished
s_nop 0                                            // 1 wait state required when next inst writes vgprs held by previous dwordx4 store inst
/* optSingleColVgpr=0 optSharedColVgpr=0 optSGPRUsage=BufferLoad_Edge_Mask optSrdIncForRow=1 */

/******************************************/
/* Global Write Alpha Edge Batch #5 (d1,d0,vc1,vc0) = */
/*    (5,0,0,0:vw4); (5,1,0,0:vw4); (5,2,0,0:vw4); (5,3,0,0:vw4) */
/******************************************/

/* calc coords, apply mask, and issue loads (if necessary) */
/* (d1,vc1,d0,vc0)=(5,0,0,0) */
_v_add_co_u32 v1, vcc, v1, 32                      // coord1.1: coord1Vgpr += d1*sg1*VW + vc1
_v_add_lshl_u32 v9, v3, v0, 0x2                    // scaleToBpe: accumulate d0 lower and *= bpe into Cin addr
/* (d1,vc1,d0,vc0)=(5,0,1,0) */
_v_add_co_u32 v10, vcc, v0, 8                      // coord0.1: coord0 += d0*sg0*VW + vc0
_v_add_lshl_u32 v16, v3, v10, 0x2                  // scaleToBpe: accumulate d0 lower and *= bpe into Cin addr
/* (d1,vc1,d0,vc0)=(5,0,2,0) */
_v_add_co_u32 v10, vcc, v0, 16                     // coord0.1: coord0 += d0*sg0*VW + vc0
_v_add_lshl_u32 v17, v3, v10, 0x2                  // scaleToBpe: accumulate d0 lower and *= bpe into Cin addr
/* (d1,vc1,d0,vc0)=(5,0,3,0) */
_v_add_co_u32 v10, vcc, v0, 24                     // coord0.1: coord0 += d0*sg0*VW + vc0
_v_add_lshl_u32 v18, v3, v10, 0x2                  // scaleToBpe: accumulate d0 lower and *= bpe into Cin addr
v_accvgpr_read_b32 v[vgprValuC+12], acc80 // copy acc to vreg[80]
v_accvgpr_read_b32 v[vgprValuC+13], acc81 // copy acc to vreg[81]
v_accvgpr_read_b32 v[vgprValuC+14], acc82 // copy acc to vreg[82]
v_accvgpr_read_b32 v[vgprValuC+15], acc83 // copy acc to vreg[83]
v_accvgpr_read_b32 v[vgprValuC+20], acc84 // copy acc to vreg[84]
v_accvgpr_read_b32 v[vgprValuC+21], acc85 // copy acc to vreg[85]
v_accvgpr_read_b32 v[vgprValuC+22], acc86 // copy acc to vreg[86]
v_accvgpr_read_b32 v[vgprValuC+23], acc87 // copy acc to vreg[87]
v_accvgpr_read_b32 v[vgprValuC+24], acc88 // copy acc to vreg[88]
v_accvgpr_read_b32 v[vgprValuC+25], acc89 // copy acc to vreg[89]
v_accvgpr_read_b32 v[vgprValuC+26], acc90 // copy acc to vreg[90]
v_accvgpr_read_b32 v[vgprValuC+27], acc91 // copy acc to vreg[91]
v_accvgpr_read_b32 v[vgprValuC+28], acc92 // copy acc to vreg[92]
v_accvgpr_read_b32 v[vgprValuC+29], acc93 // copy acc to vreg[93]
v_accvgpr_read_b32 v[vgprValuC+30], acc94 // copy acc to vreg[94]
v_accvgpr_read_b32 v[vgprValuC+31], acc95 // copy acc to vreg[95]
s_nop 1                                            // 2 wait states required before reading vgpr

/* rC *= alpha batchElements=[(5, 0, 0, 0), (5, 1, 0, 0), (5, 2, 0, 0), (5, 3, 0, 0)] */
v_mul_lo_u32 v[vgprValuC+12], s[sgprAlpha], v[vgprValuC+12] // *= alpha
v_mul_lo_u32 v[vgprValuC+13], s[sgprAlpha], v[vgprValuC+13] // *= alpha
	;; [unrolled: 1-line block ×16, first 2 shown]

/* apply mask, calc new C and issue writes */

/* StoreRemap: shift coord1 address */
s_mul_i32 s54, s[sgprStrideD1J], 128               // scale StrideD *= numRows(32) * bpe
s_add_u32  s[sgprSrdD+0], s[sgprSrdD+0], s54       // incToNextRow: gra SRD += inc(lower)
s_addc_u32  s[sgprSrdD+1], s[sgprSrdD+1], 0        // incToNextRow: gra SRD += inc(upper)
v_mov_b32 v10, 32                                  // set shift rows
_v_add_u32 v5, v5, v10                             // shift storeRemap coord1
_ds_store_b128 v7, v[12:15], offset:0              // storeRemap lw
_ds_store_b128 v7, v[20:23], offset:32             // storeRemap lw
_ds_store_b128 v7, v[24:27], offset:64             // storeRemap lw
	;; [unrolled: 1-line block ×3, first 2 shown]

/* Handle local read and global write */
s_waitcnt lgkmcnt(0)                               // wait for LDS write
s_barrier //wait all lds write finished

_ds_load_b128 v[12:15], v8, offset:0               // storeRemap lr
_ds_load_b128 v[16:19], v8, offset:1056            // storeRemap lr
_ds_load_b128 v[20:23], v8, offset:2112            // storeRemap lr
_ds_load_b128 v[24:27], v8, offset:3168            // storeRemap lr

s_waitcnt lgkmcnt(3)                               // wait for LDS read
_v_add_u32 v11, v5, 0                              // coord1 += nColPerLoad
_v_add_u32 v10, v4, 0                              // coord0 += element index of load vector
_v_add_u32 v9, v6, 0                               // offset coord1 += nColPerLoad
v_cmp_lt_u32 s[54:55], v10, s[sgprSizeI]           // coord0 < size0
v_cmp_lt_u32 s[56:57], v11, s[sgprSizeJ]           // coord1 < size1
s_and_b64 s[56:57], s[54:55], s[56:57]             // in0 && in1
v_mul_lo_u32 v9, v9, s[sgprStrideD1J]              // coord1 element offset =  coord1 * StrideD
_v_add_lshl_u32 v9, v9, v10, 0x2                   // scale to BPE
v_cndmask_b32 v9, -1, v9, s[56:57]                 // clip if OOB. offset
_buffer_store_b32 v12, v9, s[sgprSrdD:sgprSrdD+3], 0, offen, offset:0 // store D
_v_add_u32 v11, v5, 0                              // coord1 += nColPerLoad
_v_add_u32 v10, v4, 1                              // coord0 += element index of load vector
_v_add_u32 v9, v6, 0                               // offset coord1 += nColPerLoad
v_cmp_lt_u32 s[54:55], v10, s[sgprSizeI]           // coord0 < size0
v_cmp_lt_u32 s[56:57], v11, s[sgprSizeJ]           // coord1 < size1
s_and_b64 s[56:57], s[54:55], s[56:57]             // in0 && in1
v_mul_lo_u32 v9, v9, s[sgprStrideD1J]              // coord1 element offset =  coord1 * StrideD
_v_add_lshl_u32 v9, v9, v10, 0x2                   // scale to BPE
v_cndmask_b32 v9, -1, v9, s[56:57]                 // clip if OOB. offset
_buffer_store_b32 v13, v9, s[sgprSrdD:sgprSrdD+3], 0, offen, offset:0 // store D
_v_add_u32 v11, v5, 0                              // coord1 += nColPerLoad
_v_add_u32 v10, v4, 2                              // coord0 += element index of load vector
_v_add_u32 v9, v6, 0                               // offset coord1 += nColPerLoad
v_cmp_lt_u32 s[54:55], v10, s[sgprSizeI]           // coord0 < size0
v_cmp_lt_u32 s[56:57], v11, s[sgprSizeJ]           // coord1 < size1
s_and_b64 s[56:57], s[54:55], s[56:57]             // in0 && in1
v_mul_lo_u32 v9, v9, s[sgprStrideD1J]              // coord1 element offset =  coord1 * StrideD
_v_add_lshl_u32 v9, v9, v10, 0x2                   // scale to BPE
v_cndmask_b32 v9, -1, v9, s[56:57]                 // clip if OOB. offset
_buffer_store_b32 v14, v9, s[sgprSrdD:sgprSrdD+3], 0, offen, offset:0 // store D
_v_add_u32 v11, v5, 0                              // coord1 += nColPerLoad
_v_add_u32 v10, v4, 3                              // coord0 += element index of load vector
_v_add_u32 v9, v6, 0                               // offset coord1 += nColPerLoad
v_cmp_lt_u32 s[54:55], v10, s[sgprSizeI]           // coord0 < size0
v_cmp_lt_u32 s[56:57], v11, s[sgprSizeJ]           // coord1 < size1
s_and_b64 s[56:57], s[54:55], s[56:57]             // in0 && in1
v_mul_lo_u32 v9, v9, s[sgprStrideD1J]              // coord1 element offset =  coord1 * StrideD
_v_add_lshl_u32 v9, v9, v10, 0x2                   // scale to BPE
v_cndmask_b32 v9, -1, v9, s[56:57]                 // clip if OOB. offset
_buffer_store_b32 v15, v9, s[sgprSrdD:sgprSrdD+3], 0, offen, offset:0 // store D
s_waitcnt lgkmcnt(2)                               // wait for LDS read
_v_add_u32 v11, v5, 2                              // coord1 += nColPerLoad
_v_add_u32 v10, v4, 0                              // coord0 += element index of load vector
_v_add_u32 v9, v6, 2                               // offset coord1 += nColPerLoad
v_cmp_lt_u32 s[54:55], v10, s[sgprSizeI]           // coord0 < size0
v_cmp_lt_u32 s[56:57], v11, s[sgprSizeJ]           // coord1 < size1
s_and_b64 s[56:57], s[54:55], s[56:57]             // in0 && in1
v_mul_lo_u32 v9, v9, s[sgprStrideD1J]              // coord1 element offset =  coord1 * StrideD
_v_add_lshl_u32 v9, v9, v10, 0x2                   // scale to BPE
v_cndmask_b32 v9, -1, v9, s[56:57]                 // clip if OOB. offset
_buffer_store_b32 v16, v9, s[sgprSrdD:sgprSrdD+3], 0, offen, offset:0 // store D
_v_add_u32 v11, v5, 2                              // coord1 += nColPerLoad
_v_add_u32 v10, v4, 1                              // coord0 += element index of load vector
_v_add_u32 v9, v6, 2                               // offset coord1 += nColPerLoad
v_cmp_lt_u32 s[54:55], v10, s[sgprSizeI]           // coord0 < size0
v_cmp_lt_u32 s[56:57], v11, s[sgprSizeJ]           // coord1 < size1
s_and_b64 s[56:57], s[54:55], s[56:57]             // in0 && in1
v_mul_lo_u32 v9, v9, s[sgprStrideD1J]              // coord1 element offset =  coord1 * StrideD
_v_add_lshl_u32 v9, v9, v10, 0x2                   // scale to BPE
v_cndmask_b32 v9, -1, v9, s[56:57]                 // clip if OOB. offset
_buffer_store_b32 v17, v9, s[sgprSrdD:sgprSrdD+3], 0, offen, offset:0 // store D
_v_add_u32 v11, v5, 2                              // coord1 += nColPerLoad
_v_add_u32 v10, v4, 2                              // coord0 += element index of load vector
_v_add_u32 v9, v6, 2                               // offset coord1 += nColPerLoad
v_cmp_lt_u32 s[54:55], v10, s[sgprSizeI]           // coord0 < size0
v_cmp_lt_u32 s[56:57], v11, s[sgprSizeJ]           // coord1 < size1
s_and_b64 s[56:57], s[54:55], s[56:57]             // in0 && in1
v_mul_lo_u32 v9, v9, s[sgprStrideD1J]              // coord1 element offset =  coord1 * StrideD
_v_add_lshl_u32 v9, v9, v10, 0x2                   // scale to BPE
v_cndmask_b32 v9, -1, v9, s[56:57]                 // clip if OOB. offset
_buffer_store_b32 v18, v9, s[sgprSrdD:sgprSrdD+3], 0, offen, offset:0 // store D
_v_add_u32 v11, v5, 2                              // coord1 += nColPerLoad
_v_add_u32 v10, v4, 3                              // coord0 += element index of load vector
_v_add_u32 v9, v6, 2                               // offset coord1 += nColPerLoad
v_cmp_lt_u32 s[54:55], v10, s[sgprSizeI]           // coord0 < size0
v_cmp_lt_u32 s[56:57], v11, s[sgprSizeJ]           // coord1 < size1
s_and_b64 s[56:57], s[54:55], s[56:57]             // in0 && in1
v_mul_lo_u32 v9, v9, s[sgprStrideD1J]              // coord1 element offset =  coord1 * StrideD
_v_add_lshl_u32 v9, v9, v10, 0x2                   // scale to BPE
v_cndmask_b32 v9, -1, v9, s[56:57]                 // clip if OOB. offset
_buffer_store_b32 v19, v9, s[sgprSrdD:sgprSrdD+3], 0, offen, offset:0 // store D
	;; [unrolled: 41-line block ×4, first 2 shown]

s_barrier //wait all lds read finished
s_nop 0                                            // 1 wait state required when next inst writes vgprs held by previous dwordx4 store inst
/* optSingleColVgpr=0 optSharedColVgpr=0 optSGPRUsage=BufferLoad_Edge_Mask optSrdIncForRow=1 */

/******************************************/
/* Global Write Alpha Edge Batch #6 (d1,d0,vc1,vc0) = */
/*    (6,0,0,0:vw4); (6,1,0,0:vw4); (6,2,0,0:vw4); (6,3,0,0:vw4) */
/******************************************/

/* calc coords, apply mask, and issue loads (if necessary) */
/* (d1,vc1,d0,vc0)=(6,0,0,0) */
_v_add_co_u32 v1, vcc, v1, 32                      // coord1.1: coord1Vgpr += d1*sg1*VW + vc1
_v_add_lshl_u32 v9, v3, v0, 0x2                    // scaleToBpe: accumulate d0 lower and *= bpe into Cin addr
/* (d1,vc1,d0,vc0)=(6,0,1,0) */
_v_add_co_u32 v10, vcc, v0, 8                      // coord0.1: coord0 += d0*sg0*VW + vc0
_v_add_lshl_u32 v16, v3, v10, 0x2                  // scaleToBpe: accumulate d0 lower and *= bpe into Cin addr
/* (d1,vc1,d0,vc0)=(6,0,2,0) */
_v_add_co_u32 v10, vcc, v0, 16                     // coord0.1: coord0 += d0*sg0*VW + vc0
_v_add_lshl_u32 v17, v3, v10, 0x2                  // scaleToBpe: accumulate d0 lower and *= bpe into Cin addr
/* (d1,vc1,d0,vc0)=(6,0,3,0) */
_v_add_co_u32 v10, vcc, v0, 24                     // coord0.1: coord0 += d0*sg0*VW + vc0
_v_add_lshl_u32 v18, v3, v10, 0x2                  // scaleToBpe: accumulate d0 lower and *= bpe into Cin addr
v_accvgpr_read_b32 v[vgprValuC+12], acc96 // copy acc to vreg[96]
v_accvgpr_read_b32 v[vgprValuC+13], acc97 // copy acc to vreg[97]
v_accvgpr_read_b32 v[vgprValuC+14], acc98 // copy acc to vreg[98]
v_accvgpr_read_b32 v[vgprValuC+15], acc99 // copy acc to vreg[99]
v_accvgpr_read_b32 v[vgprValuC+20], acc100 // copy acc to vreg[100]
v_accvgpr_read_b32 v[vgprValuC+21], acc101 // copy acc to vreg[101]
v_accvgpr_read_b32 v[vgprValuC+22], acc102 // copy acc to vreg[102]
v_accvgpr_read_b32 v[vgprValuC+23], acc103 // copy acc to vreg[103]
v_accvgpr_read_b32 v[vgprValuC+24], acc104 // copy acc to vreg[104]
v_accvgpr_read_b32 v[vgprValuC+25], acc105 // copy acc to vreg[105]
v_accvgpr_read_b32 v[vgprValuC+26], acc106 // copy acc to vreg[106]
v_accvgpr_read_b32 v[vgprValuC+27], acc107 // copy acc to vreg[107]
v_accvgpr_read_b32 v[vgprValuC+28], acc108 // copy acc to vreg[108]
v_accvgpr_read_b32 v[vgprValuC+29], acc109 // copy acc to vreg[109]
v_accvgpr_read_b32 v[vgprValuC+30], acc110 // copy acc to vreg[110]
v_accvgpr_read_b32 v[vgprValuC+31], acc111 // copy acc to vreg[111]
s_nop 1                                            // 2 wait states required before reading vgpr

/* rC *= alpha batchElements=[(6, 0, 0, 0), (6, 1, 0, 0), (6, 2, 0, 0), (6, 3, 0, 0)] */
v_mul_lo_u32 v[vgprValuC+12], s[sgprAlpha], v[vgprValuC+12] // *= alpha
v_mul_lo_u32 v[vgprValuC+13], s[sgprAlpha], v[vgprValuC+13] // *= alpha
	;; [unrolled: 1-line block ×16, first 2 shown]

/* apply mask, calc new C and issue writes */

/* StoreRemap: shift coord1 address */
s_mul_i32 s54, s[sgprStrideD1J], 128               // scale StrideD *= numRows(32) * bpe
s_add_u32  s[sgprSrdD+0], s[sgprSrdD+0], s54       // incToNextRow: gra SRD += inc(lower)
s_addc_u32  s[sgprSrdD+1], s[sgprSrdD+1], 0        // incToNextRow: gra SRD += inc(upper)
v_mov_b32 v10, 32                                  // set shift rows
_v_add_u32 v5, v5, v10                             // shift storeRemap coord1
_ds_store_b128 v7, v[12:15], offset:0              // storeRemap lw
_ds_store_b128 v7, v[20:23], offset:32             // storeRemap lw
_ds_store_b128 v7, v[24:27], offset:64             // storeRemap lw
	;; [unrolled: 1-line block ×3, first 2 shown]

/* Handle local read and global write */
s_waitcnt lgkmcnt(0)                               // wait for LDS write
s_barrier //wait all lds write finished

_ds_load_b128 v[12:15], v8, offset:0               // storeRemap lr
_ds_load_b128 v[16:19], v8, offset:1056            // storeRemap lr
_ds_load_b128 v[20:23], v8, offset:2112            // storeRemap lr
	;; [unrolled: 1-line block ×3, first 2 shown]

s_waitcnt lgkmcnt(3)                               // wait for LDS read
_v_add_u32 v11, v5, 0                              // coord1 += nColPerLoad
_v_add_u32 v10, v4, 0                              // coord0 += element index of load vector
_v_add_u32 v9, v6, 0                               // offset coord1 += nColPerLoad
v_cmp_lt_u32 s[54:55], v10, s[sgprSizeI]           // coord0 < size0
v_cmp_lt_u32 s[56:57], v11, s[sgprSizeJ]           // coord1 < size1
s_and_b64 s[56:57], s[54:55], s[56:57]             // in0 && in1
v_mul_lo_u32 v9, v9, s[sgprStrideD1J]              // coord1 element offset =  coord1 * StrideD
_v_add_lshl_u32 v9, v9, v10, 0x2                   // scale to BPE
v_cndmask_b32 v9, -1, v9, s[56:57]                 // clip if OOB. offset
_buffer_store_b32 v12, v9, s[sgprSrdD:sgprSrdD+3], 0, offen, offset:0 // store D
_v_add_u32 v11, v5, 0                              // coord1 += nColPerLoad
_v_add_u32 v10, v4, 1                              // coord0 += element index of load vector
_v_add_u32 v9, v6, 0                               // offset coord1 += nColPerLoad
v_cmp_lt_u32 s[54:55], v10, s[sgprSizeI]           // coord0 < size0
v_cmp_lt_u32 s[56:57], v11, s[sgprSizeJ]           // coord1 < size1
s_and_b64 s[56:57], s[54:55], s[56:57]             // in0 && in1
v_mul_lo_u32 v9, v9, s[sgprStrideD1J]              // coord1 element offset =  coord1 * StrideD
_v_add_lshl_u32 v9, v9, v10, 0x2                   // scale to BPE
v_cndmask_b32 v9, -1, v9, s[56:57]                 // clip if OOB. offset
_buffer_store_b32 v13, v9, s[sgprSrdD:sgprSrdD+3], 0, offen, offset:0 // store D
_v_add_u32 v11, v5, 0                              // coord1 += nColPerLoad
_v_add_u32 v10, v4, 2                              // coord0 += element index of load vector
_v_add_u32 v9, v6, 0                               // offset coord1 += nColPerLoad
v_cmp_lt_u32 s[54:55], v10, s[sgprSizeI]           // coord0 < size0
v_cmp_lt_u32 s[56:57], v11, s[sgprSizeJ]           // coord1 < size1
s_and_b64 s[56:57], s[54:55], s[56:57]             // in0 && in1
v_mul_lo_u32 v9, v9, s[sgprStrideD1J]              // coord1 element offset =  coord1 * StrideD
_v_add_lshl_u32 v9, v9, v10, 0x2                   // scale to BPE
v_cndmask_b32 v9, -1, v9, s[56:57]                 // clip if OOB. offset
_buffer_store_b32 v14, v9, s[sgprSrdD:sgprSrdD+3], 0, offen, offset:0 // store D
_v_add_u32 v11, v5, 0                              // coord1 += nColPerLoad
_v_add_u32 v10, v4, 3                              // coord0 += element index of load vector
_v_add_u32 v9, v6, 0                               // offset coord1 += nColPerLoad
v_cmp_lt_u32 s[54:55], v10, s[sgprSizeI]           // coord0 < size0
v_cmp_lt_u32 s[56:57], v11, s[sgprSizeJ]           // coord1 < size1
s_and_b64 s[56:57], s[54:55], s[56:57]             // in0 && in1
v_mul_lo_u32 v9, v9, s[sgprStrideD1J]              // coord1 element offset =  coord1 * StrideD
_v_add_lshl_u32 v9, v9, v10, 0x2                   // scale to BPE
v_cndmask_b32 v9, -1, v9, s[56:57]                 // clip if OOB. offset
_buffer_store_b32 v15, v9, s[sgprSrdD:sgprSrdD+3], 0, offen, offset:0 // store D
s_waitcnt lgkmcnt(2)                               // wait for LDS read
_v_add_u32 v11, v5, 2                              // coord1 += nColPerLoad
_v_add_u32 v10, v4, 0                              // coord0 += element index of load vector
_v_add_u32 v9, v6, 2                               // offset coord1 += nColPerLoad
v_cmp_lt_u32 s[54:55], v10, s[sgprSizeI]           // coord0 < size0
v_cmp_lt_u32 s[56:57], v11, s[sgprSizeJ]           // coord1 < size1
s_and_b64 s[56:57], s[54:55], s[56:57]             // in0 && in1
v_mul_lo_u32 v9, v9, s[sgprStrideD1J]              // coord1 element offset =  coord1 * StrideD
_v_add_lshl_u32 v9, v9, v10, 0x2                   // scale to BPE
v_cndmask_b32 v9, -1, v9, s[56:57]                 // clip if OOB. offset
_buffer_store_b32 v16, v9, s[sgprSrdD:sgprSrdD+3], 0, offen, offset:0 // store D
_v_add_u32 v11, v5, 2                              // coord1 += nColPerLoad
_v_add_u32 v10, v4, 1                              // coord0 += element index of load vector
_v_add_u32 v9, v6, 2                               // offset coord1 += nColPerLoad
v_cmp_lt_u32 s[54:55], v10, s[sgprSizeI]           // coord0 < size0
v_cmp_lt_u32 s[56:57], v11, s[sgprSizeJ]           // coord1 < size1
s_and_b64 s[56:57], s[54:55], s[56:57]             // in0 && in1
v_mul_lo_u32 v9, v9, s[sgprStrideD1J]              // coord1 element offset =  coord1 * StrideD
_v_add_lshl_u32 v9, v9, v10, 0x2                   // scale to BPE
v_cndmask_b32 v9, -1, v9, s[56:57]                 // clip if OOB. offset
_buffer_store_b32 v17, v9, s[sgprSrdD:sgprSrdD+3], 0, offen, offset:0 // store D
_v_add_u32 v11, v5, 2                              // coord1 += nColPerLoad
_v_add_u32 v10, v4, 2                              // coord0 += element index of load vector
_v_add_u32 v9, v6, 2                               // offset coord1 += nColPerLoad
v_cmp_lt_u32 s[54:55], v10, s[sgprSizeI]           // coord0 < size0
v_cmp_lt_u32 s[56:57], v11, s[sgprSizeJ]           // coord1 < size1
s_and_b64 s[56:57], s[54:55], s[56:57]             // in0 && in1
v_mul_lo_u32 v9, v9, s[sgprStrideD1J]              // coord1 element offset =  coord1 * StrideD
_v_add_lshl_u32 v9, v9, v10, 0x2                   // scale to BPE
v_cndmask_b32 v9, -1, v9, s[56:57]                 // clip if OOB. offset
_buffer_store_b32 v18, v9, s[sgprSrdD:sgprSrdD+3], 0, offen, offset:0 // store D
_v_add_u32 v11, v5, 2                              // coord1 += nColPerLoad
_v_add_u32 v10, v4, 3                              // coord0 += element index of load vector
_v_add_u32 v9, v6, 2                               // offset coord1 += nColPerLoad
v_cmp_lt_u32 s[54:55], v10, s[sgprSizeI]           // coord0 < size0
v_cmp_lt_u32 s[56:57], v11, s[sgprSizeJ]           // coord1 < size1
s_and_b64 s[56:57], s[54:55], s[56:57]             // in0 && in1
v_mul_lo_u32 v9, v9, s[sgprStrideD1J]              // coord1 element offset =  coord1 * StrideD
_v_add_lshl_u32 v9, v9, v10, 0x2                   // scale to BPE
v_cndmask_b32 v9, -1, v9, s[56:57]                 // clip if OOB. offset
_buffer_store_b32 v19, v9, s[sgprSrdD:sgprSrdD+3], 0, offen, offset:0 // store D
	;; [unrolled: 41-line block ×4, first 2 shown]

s_barrier //wait all lds read finished
s_nop 0                                            // 1 wait state required when next inst writes vgprs held by previous dwordx4 store inst
/* optSingleColVgpr=0 optSharedColVgpr=0 optSGPRUsage=BufferLoad_Edge_Mask optSrdIncForRow=1 */

/******************************************/
/* Global Write Alpha Edge Batch #7 (d1,d0,vc1,vc0) = */
/*    (7,0,0,0:vw4); (7,1,0,0:vw4); (7,2,0,0:vw4); (7,3,0,0:vw4) */
/******************************************/

/* calc coords, apply mask, and issue loads (if necessary) */
/* (d1,vc1,d0,vc0)=(7,0,0,0) */
_v_add_co_u32 v1, vcc, v1, 32                      // coord1.1: coord1Vgpr += d1*sg1*VW + vc1
_v_add_lshl_u32 v9, v3, v0, 0x2                    // scaleToBpe: accumulate d0 lower and *= bpe into Cin addr
/* (d1,vc1,d0,vc0)=(7,0,1,0) */
_v_add_co_u32 v10, vcc, v0, 8                      // coord0.1: coord0 += d0*sg0*VW + vc0
_v_add_lshl_u32 v16, v3, v10, 0x2                  // scaleToBpe: accumulate d0 lower and *= bpe into Cin addr
/* (d1,vc1,d0,vc0)=(7,0,2,0) */
_v_add_co_u32 v10, vcc, v0, 16                     // coord0.1: coord0 += d0*sg0*VW + vc0
_v_add_lshl_u32 v17, v3, v10, 0x2                  // scaleToBpe: accumulate d0 lower and *= bpe into Cin addr
/* (d1,vc1,d0,vc0)=(7,0,3,0) */
_v_add_co_u32 v10, vcc, v0, 24                     // coord0.1: coord0 += d0*sg0*VW + vc0
_v_add_lshl_u32 v18, v3, v10, 0x2                  // scaleToBpe: accumulate d0 lower and *= bpe into Cin addr
v_accvgpr_read_b32 v[vgprValuC+12], acc112 // copy acc to vreg[112]
v_accvgpr_read_b32 v[vgprValuC+13], acc113 // copy acc to vreg[113]
v_accvgpr_read_b32 v[vgprValuC+14], acc114 // copy acc to vreg[114]
v_accvgpr_read_b32 v[vgprValuC+15], acc115 // copy acc to vreg[115]
v_accvgpr_read_b32 v[vgprValuC+20], acc116 // copy acc to vreg[116]
v_accvgpr_read_b32 v[vgprValuC+21], acc117 // copy acc to vreg[117]
v_accvgpr_read_b32 v[vgprValuC+22], acc118 // copy acc to vreg[118]
v_accvgpr_read_b32 v[vgprValuC+23], acc119 // copy acc to vreg[119]
v_accvgpr_read_b32 v[vgprValuC+24], acc120 // copy acc to vreg[120]
v_accvgpr_read_b32 v[vgprValuC+25], acc121 // copy acc to vreg[121]
v_accvgpr_read_b32 v[vgprValuC+26], acc122 // copy acc to vreg[122]
v_accvgpr_read_b32 v[vgprValuC+27], acc123 // copy acc to vreg[123]
v_accvgpr_read_b32 v[vgprValuC+28], acc124 // copy acc to vreg[124]
v_accvgpr_read_b32 v[vgprValuC+29], acc125 // copy acc to vreg[125]
v_accvgpr_read_b32 v[vgprValuC+30], acc126 // copy acc to vreg[126]
v_accvgpr_read_b32 v[vgprValuC+31], acc127 // copy acc to vreg[127]
s_nop 1                                            // 2 wait states required before reading vgpr

/* rC *= alpha batchElements=[(7, 0, 0, 0), (7, 1, 0, 0), (7, 2, 0, 0), (7, 3, 0, 0)] */
v_mul_lo_u32 v[vgprValuC+12], s[sgprAlpha], v[vgprValuC+12] // *= alpha
v_mul_lo_u32 v[vgprValuC+13], s[sgprAlpha], v[vgprValuC+13] // *= alpha
	;; [unrolled: 1-line block ×16, first 2 shown]

/* apply mask, calc new C and issue writes */

/* StoreRemap: shift coord1 address */
s_mul_i32 s54, s[sgprStrideD1J], 128               // scale StrideD *= numRows(32) * bpe
s_add_u32  s[sgprSrdD+0], s[sgprSrdD+0], s54       // incToNextRow: gra SRD += inc(lower)
s_addc_u32  s[sgprSrdD+1], s[sgprSrdD+1], 0        // incToNextRow: gra SRD += inc(upper)
v_mov_b32 v10, 32                                  // set shift rows
_v_add_u32 v5, v5, v10                             // shift storeRemap coord1
_ds_store_b128 v7, v[12:15], offset:0              // storeRemap lw
_ds_store_b128 v7, v[20:23], offset:32             // storeRemap lw
_ds_store_b128 v7, v[24:27], offset:64             // storeRemap lw
_ds_store_b128 v7, v[28:31], offset:96             // storeRemap lw

/* Handle local read and global write */
s_waitcnt lgkmcnt(0)                               // wait for LDS write
s_barrier //wait all lds write finished

_ds_load_b128 v[12:15], v8, offset:0               // storeRemap lr
_ds_load_b128 v[16:19], v8, offset:1056            // storeRemap lr
_ds_load_b128 v[20:23], v8, offset:2112            // storeRemap lr
	;; [unrolled: 1-line block ×3, first 2 shown]

s_waitcnt lgkmcnt(3)                               // wait for LDS read
_v_add_u32 v11, v5, 0                              // coord1 += nColPerLoad
_v_add_u32 v10, v4, 0                              // coord0 += element index of load vector
_v_add_u32 v9, v6, 0                               // offset coord1 += nColPerLoad
v_cmp_lt_u32 s[54:55], v10, s[sgprSizeI]           // coord0 < size0
v_cmp_lt_u32 s[56:57], v11, s[sgprSizeJ]           // coord1 < size1
s_and_b64 s[56:57], s[54:55], s[56:57]             // in0 && in1
v_mul_lo_u32 v9, v9, s[sgprStrideD1J]              // coord1 element offset =  coord1 * StrideD
_v_add_lshl_u32 v9, v9, v10, 0x2                   // scale to BPE
v_cndmask_b32 v9, -1, v9, s[56:57]                 // clip if OOB. offset
_buffer_store_b32 v12, v9, s[sgprSrdD:sgprSrdD+3], 0, offen, offset:0 // store D
_v_add_u32 v11, v5, 0                              // coord1 += nColPerLoad
_v_add_u32 v10, v4, 1                              // coord0 += element index of load vector
_v_add_u32 v9, v6, 0                               // offset coord1 += nColPerLoad
v_cmp_lt_u32 s[54:55], v10, s[sgprSizeI]           // coord0 < size0
v_cmp_lt_u32 s[56:57], v11, s[sgprSizeJ]           // coord1 < size1
s_and_b64 s[56:57], s[54:55], s[56:57]             // in0 && in1
v_mul_lo_u32 v9, v9, s[sgprStrideD1J]              // coord1 element offset =  coord1 * StrideD
_v_add_lshl_u32 v9, v9, v10, 0x2                   // scale to BPE
v_cndmask_b32 v9, -1, v9, s[56:57]                 // clip if OOB. offset
_buffer_store_b32 v13, v9, s[sgprSrdD:sgprSrdD+3], 0, offen, offset:0 // store D
_v_add_u32 v11, v5, 0                              // coord1 += nColPerLoad
_v_add_u32 v10, v4, 2                              // coord0 += element index of load vector
_v_add_u32 v9, v6, 0                               // offset coord1 += nColPerLoad
v_cmp_lt_u32 s[54:55], v10, s[sgprSizeI]           // coord0 < size0
v_cmp_lt_u32 s[56:57], v11, s[sgprSizeJ]           // coord1 < size1
s_and_b64 s[56:57], s[54:55], s[56:57]             // in0 && in1
v_mul_lo_u32 v9, v9, s[sgprStrideD1J]              // coord1 element offset =  coord1 * StrideD
_v_add_lshl_u32 v9, v9, v10, 0x2                   // scale to BPE
v_cndmask_b32 v9, -1, v9, s[56:57]                 // clip if OOB. offset
_buffer_store_b32 v14, v9, s[sgprSrdD:sgprSrdD+3], 0, offen, offset:0 // store D
_v_add_u32 v11, v5, 0                              // coord1 += nColPerLoad
_v_add_u32 v10, v4, 3                              // coord0 += element index of load vector
_v_add_u32 v9, v6, 0                               // offset coord1 += nColPerLoad
v_cmp_lt_u32 s[54:55], v10, s[sgprSizeI]           // coord0 < size0
v_cmp_lt_u32 s[56:57], v11, s[sgprSizeJ]           // coord1 < size1
s_and_b64 s[56:57], s[54:55], s[56:57]             // in0 && in1
v_mul_lo_u32 v9, v9, s[sgprStrideD1J]              // coord1 element offset =  coord1 * StrideD
_v_add_lshl_u32 v9, v9, v10, 0x2                   // scale to BPE
v_cndmask_b32 v9, -1, v9, s[56:57]                 // clip if OOB. offset
_buffer_store_b32 v15, v9, s[sgprSrdD:sgprSrdD+3], 0, offen, offset:0 // store D
s_waitcnt lgkmcnt(2)                               // wait for LDS read
_v_add_u32 v11, v5, 2                              // coord1 += nColPerLoad
_v_add_u32 v10, v4, 0                              // coord0 += element index of load vector
_v_add_u32 v9, v6, 2                               // offset coord1 += nColPerLoad
v_cmp_lt_u32 s[54:55], v10, s[sgprSizeI]           // coord0 < size0
v_cmp_lt_u32 s[56:57], v11, s[sgprSizeJ]           // coord1 < size1
s_and_b64 s[56:57], s[54:55], s[56:57]             // in0 && in1
v_mul_lo_u32 v9, v9, s[sgprStrideD1J]              // coord1 element offset =  coord1 * StrideD
_v_add_lshl_u32 v9, v9, v10, 0x2                   // scale to BPE
v_cndmask_b32 v9, -1, v9, s[56:57]                 // clip if OOB. offset
_buffer_store_b32 v16, v9, s[sgprSrdD:sgprSrdD+3], 0, offen, offset:0 // store D
_v_add_u32 v11, v5, 2                              // coord1 += nColPerLoad
_v_add_u32 v10, v4, 1                              // coord0 += element index of load vector
_v_add_u32 v9, v6, 2                               // offset coord1 += nColPerLoad
v_cmp_lt_u32 s[54:55], v10, s[sgprSizeI]           // coord0 < size0
v_cmp_lt_u32 s[56:57], v11, s[sgprSizeJ]           // coord1 < size1
s_and_b64 s[56:57], s[54:55], s[56:57]             // in0 && in1
v_mul_lo_u32 v9, v9, s[sgprStrideD1J]              // coord1 element offset =  coord1 * StrideD
_v_add_lshl_u32 v9, v9, v10, 0x2                   // scale to BPE
v_cndmask_b32 v9, -1, v9, s[56:57]                 // clip if OOB. offset
_buffer_store_b32 v17, v9, s[sgprSrdD:sgprSrdD+3], 0, offen, offset:0 // store D
_v_add_u32 v11, v5, 2                              // coord1 += nColPerLoad
_v_add_u32 v10, v4, 2                              // coord0 += element index of load vector
_v_add_u32 v9, v6, 2                               // offset coord1 += nColPerLoad
v_cmp_lt_u32 s[54:55], v10, s[sgprSizeI]           // coord0 < size0
v_cmp_lt_u32 s[56:57], v11, s[sgprSizeJ]           // coord1 < size1
s_and_b64 s[56:57], s[54:55], s[56:57]             // in0 && in1
v_mul_lo_u32 v9, v9, s[sgprStrideD1J]              // coord1 element offset =  coord1 * StrideD
_v_add_lshl_u32 v9, v9, v10, 0x2                   // scale to BPE
v_cndmask_b32 v9, -1, v9, s[56:57]                 // clip if OOB. offset
_buffer_store_b32 v18, v9, s[sgprSrdD:sgprSrdD+3], 0, offen, offset:0 // store D
_v_add_u32 v11, v5, 2                              // coord1 += nColPerLoad
_v_add_u32 v10, v4, 3                              // coord0 += element index of load vector
_v_add_u32 v9, v6, 2                               // offset coord1 += nColPerLoad
v_cmp_lt_u32 s[54:55], v10, s[sgprSizeI]           // coord0 < size0
v_cmp_lt_u32 s[56:57], v11, s[sgprSizeJ]           // coord1 < size1
s_and_b64 s[56:57], s[54:55], s[56:57]             // in0 && in1
v_mul_lo_u32 v9, v9, s[sgprStrideD1J]              // coord1 element offset =  coord1 * StrideD
_v_add_lshl_u32 v9, v9, v10, 0x2                   // scale to BPE
v_cndmask_b32 v9, -1, v9, s[56:57]                 // clip if OOB. offset
_buffer_store_b32 v19, v9, s[sgprSrdD:sgprSrdD+3], 0, offen, offset:0 // store D
	;; [unrolled: 41-line block ×4, first 2 shown]

s_barrier //wait all lds read finished
s_nop 0                                            // 1 wait state required when next inst writes vgprs held by previous dwordx4 store inst
s_branch label_GW_End_90                           // jump to end
GW_Beta_91:
s_and_b32 s54, 127, s[sgprSizeI]                   // s54 = s[sgprSizeI] % 128
s_add_u32 s55, -0x1, s[sgprNumWorkGroups0]         // 
s_cmp_ge_u32 s[sgprWorkGroup0], s55                // wg0 >= nwg0-1 ?
s_cselect_b32 s54, s54, 0                          // set rMT0
s_cmpk_gt_u32 s54, 0x0                             // rMT0 > 0
s_cbranch_scc1 GW_B1_E1_89                         // jump if edges required
s_and_b32 s54, 255, s[sgprSizeJ]                   // s54 = s[sgprSizeJ] % 256
s_add_u32 s55, -0x1, s[sgprNumWorkGroups1]         // 
s_cmp_ge_u32 s[sgprWorkGroup1], s55                // wg1 >= nwg1-1
s_cselect_b32 s54, s54, 0                          // set rMT1
s_cmpk_gt_u32 s54, 0x0                             // rMT1 > 0
s_cbranch_scc1 GW_B1_E1_89                         // jump if edges required
GW_B1_E0_86:

/* edge=0, allocate 2 sgpr. perBatchTmpS=2 perBatchMaskS=0 perElementMaskS=0 elementsPerBatch=4 */
/* optSingleColVgpr=1 optSharedColVgpr=0 optSGPRUsage=BufferLoad_Mask optSrdIncForRow=1 */

/******************************************/
/* Global Write Alpha Beta Batch #0 (d1,d0,vc1,vc0) = */
/*    (0,0,0,0:vw4); (0,1,0,0:vw4); (0,2,0,0:vw4); (0,3,0,0:vw4) */
/******************************************/

/* calc coords, apply mask, and issue loads (if necessary) */
/* (d1,vc1,d0,vc0)=(0,0,0,0) */
_v_add_lshl_u32 v12, v2, v0, 0x2                   // optSingleColVgpr scaleToBpe: sharedAddrVgpr <- cinRowPtr + coord0, scaled by BPE. BSHERE:coord0=0, coord0Vgpr=0
_buffer_load_b128 v[16:19], v12, s[sgprSrdC:sgprSrdC+3], 0, offen offset:0 // load C for beta calc
/* (d1,vc1,d0,vc0)=(0,0,1,0) */
_buffer_load_b128 v[24:27], v12, s[sgprSrdC:sgprSrdC+3], 0, offen offset:32 // load C for beta calc
/* (d1,vc1,d0,vc0)=(0,0,2,0) */
	;; [unrolled: 2-line block ×3, first 2 shown]
_buffer_load_b128 v[40:43], v12, s[sgprSrdC:sgprSrdC+3], 0, offen offset:96 // load C for beta calc
_v_add_lshl_u32 v9, v3, v0, 0x2                    // optSingleColVgpr scaleToBpe: sharedAddrVgpr <- cinRowPtr + coord0, scaled by BPE. BSHERE:coord0=0, coord0Vgpr=0
v_accvgpr_read_b32 v[vgprValuC+20], acc0 // copy acc to vreg[0]
v_accvgpr_read_b32 v[vgprValuC+21], acc1 // copy acc to vreg[1]
v_accvgpr_read_b32 v[vgprValuC+22], acc2 // copy acc to vreg[2]
v_accvgpr_read_b32 v[vgprValuC+23], acc3 // copy acc to vreg[3]
v_accvgpr_read_b32 v[vgprValuC+28], acc4 // copy acc to vreg[4]
v_accvgpr_read_b32 v[vgprValuC+29], acc5 // copy acc to vreg[5]
v_accvgpr_read_b32 v[vgprValuC+30], acc6 // copy acc to vreg[6]
v_accvgpr_read_b32 v[vgprValuC+31], acc7 // copy acc to vreg[7]
v_accvgpr_read_b32 v[vgprValuC+36], acc8 // copy acc to vreg[8]
v_accvgpr_read_b32 v[vgprValuC+37], acc9 // copy acc to vreg[9]
v_accvgpr_read_b32 v[vgprValuC+38], acc10 // copy acc to vreg[10]
v_accvgpr_read_b32 v[vgprValuC+39], acc11 // copy acc to vreg[11]
v_accvgpr_read_b32 v[vgprValuC+44], acc12 // copy acc to vreg[12]
v_accvgpr_read_b32 v[vgprValuC+45], acc13 // copy acc to vreg[13]
v_accvgpr_read_b32 v[vgprValuC+46], acc14 // copy acc to vreg[14]
v_accvgpr_read_b32 v[vgprValuC+47], acc15 // copy acc to vreg[15]
s_nop 1                                            // 2 wait states required before reading vgpr

/* rC *= alpha batchElements=[(0, 0, 0, 0), (0, 1, 0, 0), (0, 2, 0, 0), (0, 3, 0, 0)] */
v_mul_lo_u32 v[vgprValuC+20], s[sgprAlpha], v[vgprValuC+20] // *= alpha
v_mul_lo_u32 v[vgprValuC+21], s[sgprAlpha], v[vgprValuC+21] // *= alpha
	;; [unrolled: 1-line block ×16, first 2 shown]

/* apply mask, calc new C and issue writes */

s_waitcnt vmcnt(3)                                 // wait C (interleaved) 3 = 4 - 0 + 0 - 1
v_mul_lo_u32 v16, s[sgprBeta], v16                 // C = C*beta
_v_add_u32 v[vgprValuC+20], v16, v[vgprValuC+20]   // finalSum = sum*alpha + C*beta
v_mul_lo_u32 v17, s[sgprBeta], v17                 // C = C*beta
_v_add_u32 v[vgprValuC+21], v17, v[vgprValuC+21]   // finalSum = sum*alpha + C*beta
	;; [unrolled: 2-line block ×4, first 2 shown]
_ds_store_b128 v7, v[20:23], offset:0              // storeRemap lw

s_waitcnt vmcnt(2)                                 // wait C (interleaved) 2 = 4 - 1 + 0 - 1
v_mul_lo_u32 v24, s[sgprBeta], v24                 // C = C*beta
_v_add_u32 v[vgprValuC+28], v24, v[vgprValuC+28]   // finalSum = sum*alpha + C*beta
v_mul_lo_u32 v25, s[sgprBeta], v25                 // C = C*beta
_v_add_u32 v[vgprValuC+29], v25, v[vgprValuC+29]   // finalSum = sum*alpha + C*beta
v_mul_lo_u32 v26, s[sgprBeta], v26                 // C = C*beta
_v_add_u32 v[vgprValuC+30], v26, v[vgprValuC+30]   // finalSum = sum*alpha + C*beta
v_mul_lo_u32 v27, s[sgprBeta], v27                 // C = C*beta
_v_add_u32 v[vgprValuC+31], v27, v[vgprValuC+31]   // finalSum = sum*alpha + C*beta
_ds_store_b128 v7, v[28:31], offset:32             // storeRemap lw

s_waitcnt vmcnt(1)                                 // wait C (interleaved) 1 = 4 - 2 + 0 - 1
v_mul_lo_u32 v32, s[sgprBeta], v32                 // C = C*beta
_v_add_u32 v[vgprValuC+36], v32, v[vgprValuC+36]   // finalSum = sum*alpha + C*beta
v_mul_lo_u32 v33, s[sgprBeta], v33                 // C = C*beta
_v_add_u32 v[vgprValuC+37], v33, v[vgprValuC+37]   // finalSum = sum*alpha + C*beta
v_mul_lo_u32 v34, s[sgprBeta], v34                 // C = C*beta
_v_add_u32 v[vgprValuC+38], v34, v[vgprValuC+38]   // finalSum = sum*alpha + C*beta
v_mul_lo_u32 v35, s[sgprBeta], v35                 // C = C*beta
_v_add_u32 v[vgprValuC+39], v35, v[vgprValuC+39]   // finalSum = sum*alpha + C*beta
_ds_store_b128 v7, v[36:39], offset:64             // storeRemap lw
	;; [unrolled: 11-line block ×3, first 2 shown]

/* Handle local read and global write */
s_waitcnt lgkmcnt(0)                               // wait for LDS write
s_barrier //wait all lds write finished

_ds_load_b128 v[16:19], v8, offset:0               // storeRemap lr
_ds_load_b128 v[20:23], v8, offset:1056            // storeRemap lr
_ds_load_b128 v[24:27], v8, offset:2112            // storeRemap lr
	;; [unrolled: 1-line block ×3, first 2 shown]

v_mov_b32 v13, v6                                  // coord1
v_mul_lo_u32 v13, v13, s[sgprStrideD1J]            // coord1 offset =  coord1 * StrideD
_v_add_lshl_u32 v13, v13, v4, 0x2                  // global write D address
s_waitcnt lgkmcnt(3)                               // wait for LDS read
_buffer_store_b128 v[16:19], v13, s[sgprSrdD:sgprSrdD+3], 0, offen, offset:0 // store D
_v_add_u32 v13, v6, 2                              // coord1 += nColPerLoad
v_mul_lo_u32 v13, v13, s[sgprStrideD1J]            // coord1 offset =  coord1 * StrideD
_v_add_lshl_u32 v13, v13, v4, 0x2                  // global write D address
s_waitcnt lgkmcnt(2)                               // wait for LDS read
_buffer_store_b128 v[20:23], v13, s[sgprSrdD:sgprSrdD+3], 0, offen, offset:0 // store D
_v_add_u32 v13, v6, 4                              // coord1 += nColPerLoad
	;; [unrolled: 5-line block ×3, first 2 shown]
v_mul_lo_u32 v13, v13, s[sgprStrideD1J]            // coord1 offset =  coord1 * StrideD
_v_add_lshl_u32 v13, v13, v4, 0x2                  // global write D address
s_waitcnt lgkmcnt(0)                               // wait for LDS read
_buffer_store_b128 v[28:31], v13, s[sgprSrdD:sgprSrdD+3], 0, offen, offset:0 // store D

s_barrier //wait all lds read finished
s_nop 0                                            // 1 wait state required when next inst writes vgprs held by previous dwordx4 store inst
/* optSingleColVgpr=1 optSharedColVgpr=0 optSGPRUsage=BufferLoad_Mask optSrdIncForRow=1 */

/******************************************/
/* Global Write Alpha Beta Batch #1 (d1,d0,vc1,vc0) = */
/*    (1,0,0,0:vw4); (1,1,0,0:vw4); (1,2,0,0:vw4); (1,3,0,0:vw4) */
/******************************************/

/* calc coords, apply mask, and issue loads (if necessary) */
/* (d1,vc1,d0,vc0)=(1,0,0,0) */
s_mul_i32 s54, s[sgprStrideC1J], 128               // scale StrideC *= numRows(32) * bpe
s_add_u32  s[sgprSrdC+0], s[sgprSrdC+0], s54       // incToNextRow: gra SRD += inc(lower)
s_addc_u32  s[sgprSrdC+1], s[sgprSrdC+1], 0        // incToNextRow: gra SRD += inc(upper)
_buffer_load_b128 v[16:19], v12, s[sgprSrdC:sgprSrdC+3], 0, offen offset:0 // load C for beta calc
/* (d1,vc1,d0,vc0)=(1,0,1,0) */
_buffer_load_b128 v[24:27], v12, s[sgprSrdC:sgprSrdC+3], 0, offen offset:32 // load C for beta calc
/* (d1,vc1,d0,vc0)=(1,0,2,0) */
	;; [unrolled: 2-line block ×3, first 2 shown]
_buffer_load_b128 v[40:43], v12, s[sgprSrdC:sgprSrdC+3], 0, offen offset:96 // load C for beta calc
v_accvgpr_read_b32 v[vgprValuC+20], acc16 // copy acc to vreg[16]
v_accvgpr_read_b32 v[vgprValuC+21], acc17 // copy acc to vreg[17]
v_accvgpr_read_b32 v[vgprValuC+22], acc18 // copy acc to vreg[18]
v_accvgpr_read_b32 v[vgprValuC+23], acc19 // copy acc to vreg[19]
v_accvgpr_read_b32 v[vgprValuC+28], acc20 // copy acc to vreg[20]
v_accvgpr_read_b32 v[vgprValuC+29], acc21 // copy acc to vreg[21]
v_accvgpr_read_b32 v[vgprValuC+30], acc22 // copy acc to vreg[22]
v_accvgpr_read_b32 v[vgprValuC+31], acc23 // copy acc to vreg[23]
v_accvgpr_read_b32 v[vgprValuC+36], acc24 // copy acc to vreg[24]
v_accvgpr_read_b32 v[vgprValuC+37], acc25 // copy acc to vreg[25]
v_accvgpr_read_b32 v[vgprValuC+38], acc26 // copy acc to vreg[26]
v_accvgpr_read_b32 v[vgprValuC+39], acc27 // copy acc to vreg[27]
v_accvgpr_read_b32 v[vgprValuC+44], acc28 // copy acc to vreg[28]
v_accvgpr_read_b32 v[vgprValuC+45], acc29 // copy acc to vreg[29]
v_accvgpr_read_b32 v[vgprValuC+46], acc30 // copy acc to vreg[30]
v_accvgpr_read_b32 v[vgprValuC+47], acc31 // copy acc to vreg[31]
s_nop 1                                            // 2 wait states required before reading vgpr

/* rC *= alpha batchElements=[(1, 0, 0, 0), (1, 1, 0, 0), (1, 2, 0, 0), (1, 3, 0, 0)] */
v_mul_lo_u32 v[vgprValuC+20], s[sgprAlpha], v[vgprValuC+20] // *= alpha
v_mul_lo_u32 v[vgprValuC+21], s[sgprAlpha], v[vgprValuC+21] // *= alpha
v_mul_lo_u32 v[vgprValuC+22], s[sgprAlpha], v[vgprValuC+22] // *= alpha
v_mul_lo_u32 v[vgprValuC+23], s[sgprAlpha], v[vgprValuC+23] // *= alpha
v_mul_lo_u32 v[vgprValuC+28], s[sgprAlpha], v[vgprValuC+28] // *= alpha
v_mul_lo_u32 v[vgprValuC+29], s[sgprAlpha], v[vgprValuC+29] // *= alpha
v_mul_lo_u32 v[vgprValuC+30], s[sgprAlpha], v[vgprValuC+30] // *= alpha
v_mul_lo_u32 v[vgprValuC+31], s[sgprAlpha], v[vgprValuC+31] // *= alpha
v_mul_lo_u32 v[vgprValuC+36], s[sgprAlpha], v[vgprValuC+36] // *= alpha
v_mul_lo_u32 v[vgprValuC+37], s[sgprAlpha], v[vgprValuC+37] // *= alpha
v_mul_lo_u32 v[vgprValuC+38], s[sgprAlpha], v[vgprValuC+38] // *= alpha
v_mul_lo_u32 v[vgprValuC+39], s[sgprAlpha], v[vgprValuC+39] // *= alpha
v_mul_lo_u32 v[vgprValuC+44], s[sgprAlpha], v[vgprValuC+44] // *= alpha
v_mul_lo_u32 v[vgprValuC+45], s[sgprAlpha], v[vgprValuC+45] // *= alpha
v_mul_lo_u32 v[vgprValuC+46], s[sgprAlpha], v[vgprValuC+46] // *= alpha
v_mul_lo_u32 v[vgprValuC+47], s[sgprAlpha], v[vgprValuC+47] // *= alpha

/* apply mask, calc new C and issue writes */

/* StoreRemap: shift coord1 address */
s_mul_i32 s54, s[sgprStrideD1J], 128               // scale StrideD *= numRows(32) * bpe
s_add_u32  s[sgprSrdD+0], s[sgprSrdD+0], s54       // incToNextRow: gra SRD += inc(lower)
s_addc_u32  s[sgprSrdD+1], s[sgprSrdD+1], 0        // incToNextRow: gra SRD += inc(upper)
v_mov_b32 v10, 32                                  // set shift rows
_v_add_u32 v5, v5, v10                             // shift storeRemap coord1

s_waitcnt vmcnt(3)                                 // wait C (interleaved) 3 = 4 - 0 + 0 - 1
v_mul_lo_u32 v16, s[sgprBeta], v16                 // C = C*beta
_v_add_u32 v[vgprValuC+20], v16, v[vgprValuC+20]   // finalSum = sum*alpha + C*beta
v_mul_lo_u32 v17, s[sgprBeta], v17                 // C = C*beta
_v_add_u32 v[vgprValuC+21], v17, v[vgprValuC+21]   // finalSum = sum*alpha + C*beta
	;; [unrolled: 2-line block ×4, first 2 shown]
_ds_store_b128 v7, v[20:23], offset:0              // storeRemap lw

s_waitcnt vmcnt(2)                                 // wait C (interleaved) 2 = 4 - 1 + 0 - 1
v_mul_lo_u32 v24, s[sgprBeta], v24                 // C = C*beta
_v_add_u32 v[vgprValuC+28], v24, v[vgprValuC+28]   // finalSum = sum*alpha + C*beta
v_mul_lo_u32 v25, s[sgprBeta], v25                 // C = C*beta
_v_add_u32 v[vgprValuC+29], v25, v[vgprValuC+29]   // finalSum = sum*alpha + C*beta
v_mul_lo_u32 v26, s[sgprBeta], v26                 // C = C*beta
_v_add_u32 v[vgprValuC+30], v26, v[vgprValuC+30]   // finalSum = sum*alpha + C*beta
v_mul_lo_u32 v27, s[sgprBeta], v27                 // C = C*beta
_v_add_u32 v[vgprValuC+31], v27, v[vgprValuC+31]   // finalSum = sum*alpha + C*beta
_ds_store_b128 v7, v[28:31], offset:32             // storeRemap lw

s_waitcnt vmcnt(1)                                 // wait C (interleaved) 1 = 4 - 2 + 0 - 1
v_mul_lo_u32 v32, s[sgprBeta], v32                 // C = C*beta
_v_add_u32 v[vgprValuC+36], v32, v[vgprValuC+36]   // finalSum = sum*alpha + C*beta
v_mul_lo_u32 v33, s[sgprBeta], v33                 // C = C*beta
_v_add_u32 v[vgprValuC+37], v33, v[vgprValuC+37]   // finalSum = sum*alpha + C*beta
v_mul_lo_u32 v34, s[sgprBeta], v34                 // C = C*beta
_v_add_u32 v[vgprValuC+38], v34, v[vgprValuC+38]   // finalSum = sum*alpha + C*beta
v_mul_lo_u32 v35, s[sgprBeta], v35                 // C = C*beta
_v_add_u32 v[vgprValuC+39], v35, v[vgprValuC+39]   // finalSum = sum*alpha + C*beta
_ds_store_b128 v7, v[36:39], offset:64             // storeRemap lw
	;; [unrolled: 11-line block ×3, first 2 shown]

/* Handle local read and global write */
s_waitcnt lgkmcnt(0)                               // wait for LDS write
s_barrier //wait all lds write finished

_ds_load_b128 v[16:19], v8, offset:0               // storeRemap lr
_ds_load_b128 v[20:23], v8, offset:1056            // storeRemap lr
_ds_load_b128 v[24:27], v8, offset:2112            // storeRemap lr
	;; [unrolled: 1-line block ×3, first 2 shown]

v_mov_b32 v13, v6                                  // coord1
v_mul_lo_u32 v13, v13, s[sgprStrideD1J]            // coord1 offset =  coord1 * StrideD
_v_add_lshl_u32 v13, v13, v4, 0x2                  // global write D address
s_waitcnt lgkmcnt(3)                               // wait for LDS read
_buffer_store_b128 v[16:19], v13, s[sgprSrdD:sgprSrdD+3], 0, offen, offset:0 // store D
_v_add_u32 v13, v6, 2                              // coord1 += nColPerLoad
v_mul_lo_u32 v13, v13, s[sgprStrideD1J]            // coord1 offset =  coord1 * StrideD
_v_add_lshl_u32 v13, v13, v4, 0x2                  // global write D address
s_waitcnt lgkmcnt(2)                               // wait for LDS read
_buffer_store_b128 v[20:23], v13, s[sgprSrdD:sgprSrdD+3], 0, offen, offset:0 // store D
_v_add_u32 v13, v6, 4                              // coord1 += nColPerLoad
	;; [unrolled: 5-line block ×3, first 2 shown]
v_mul_lo_u32 v13, v13, s[sgprStrideD1J]            // coord1 offset =  coord1 * StrideD
_v_add_lshl_u32 v13, v13, v4, 0x2                  // global write D address
s_waitcnt lgkmcnt(0)                               // wait for LDS read
_buffer_store_b128 v[28:31], v13, s[sgprSrdD:sgprSrdD+3], 0, offen, offset:0 // store D

s_barrier //wait all lds read finished
s_nop 0                                            // 1 wait state required when next inst writes vgprs held by previous dwordx4 store inst
/* optSingleColVgpr=1 optSharedColVgpr=0 optSGPRUsage=BufferLoad_Mask optSrdIncForRow=1 */

/******************************************/
/* Global Write Alpha Beta Batch #2 (d1,d0,vc1,vc0) = */
/*    (2,0,0,0:vw4); (2,1,0,0:vw4); (2,2,0,0:vw4); (2,3,0,0:vw4) */
/******************************************/

/* calc coords, apply mask, and issue loads (if necessary) */
/* (d1,vc1,d0,vc0)=(2,0,0,0) */
s_mul_i32 s54, s[sgprStrideC1J], 128               // scale StrideC *= numRows(32) * bpe
s_add_u32  s[sgprSrdC+0], s[sgprSrdC+0], s54       // incToNextRow: gra SRD += inc(lower)
s_addc_u32  s[sgprSrdC+1], s[sgprSrdC+1], 0        // incToNextRow: gra SRD += inc(upper)
_buffer_load_b128 v[16:19], v12, s[sgprSrdC:sgprSrdC+3], 0, offen offset:0 // load C for beta calc
/* (d1,vc1,d0,vc0)=(2,0,1,0) */
_buffer_load_b128 v[24:27], v12, s[sgprSrdC:sgprSrdC+3], 0, offen offset:32 // load C for beta calc
/* (d1,vc1,d0,vc0)=(2,0,2,0) */
	;; [unrolled: 2-line block ×3, first 2 shown]
_buffer_load_b128 v[40:43], v12, s[sgprSrdC:sgprSrdC+3], 0, offen offset:96 // load C for beta calc
v_accvgpr_read_b32 v[vgprValuC+20], acc32 // copy acc to vreg[32]
v_accvgpr_read_b32 v[vgprValuC+21], acc33 // copy acc to vreg[33]
v_accvgpr_read_b32 v[vgprValuC+22], acc34 // copy acc to vreg[34]
v_accvgpr_read_b32 v[vgprValuC+23], acc35 // copy acc to vreg[35]
v_accvgpr_read_b32 v[vgprValuC+28], acc36 // copy acc to vreg[36]
v_accvgpr_read_b32 v[vgprValuC+29], acc37 // copy acc to vreg[37]
v_accvgpr_read_b32 v[vgprValuC+30], acc38 // copy acc to vreg[38]
v_accvgpr_read_b32 v[vgprValuC+31], acc39 // copy acc to vreg[39]
v_accvgpr_read_b32 v[vgprValuC+36], acc40 // copy acc to vreg[40]
v_accvgpr_read_b32 v[vgprValuC+37], acc41 // copy acc to vreg[41]
v_accvgpr_read_b32 v[vgprValuC+38], acc42 // copy acc to vreg[42]
v_accvgpr_read_b32 v[vgprValuC+39], acc43 // copy acc to vreg[43]
v_accvgpr_read_b32 v[vgprValuC+44], acc44 // copy acc to vreg[44]
v_accvgpr_read_b32 v[vgprValuC+45], acc45 // copy acc to vreg[45]
v_accvgpr_read_b32 v[vgprValuC+46], acc46 // copy acc to vreg[46]
v_accvgpr_read_b32 v[vgprValuC+47], acc47 // copy acc to vreg[47]
s_nop 1                                            // 2 wait states required before reading vgpr

/* rC *= alpha batchElements=[(2, 0, 0, 0), (2, 1, 0, 0), (2, 2, 0, 0), (2, 3, 0, 0)] */
v_mul_lo_u32 v[vgprValuC+20], s[sgprAlpha], v[vgprValuC+20] // *= alpha
v_mul_lo_u32 v[vgprValuC+21], s[sgprAlpha], v[vgprValuC+21] // *= alpha
	;; [unrolled: 1-line block ×16, first 2 shown]

/* apply mask, calc new C and issue writes */

/* StoreRemap: shift coord1 address */
s_mul_i32 s54, s[sgprStrideD1J], 128               // scale StrideD *= numRows(32) * bpe
s_add_u32  s[sgprSrdD+0], s[sgprSrdD+0], s54       // incToNextRow: gra SRD += inc(lower)
s_addc_u32  s[sgprSrdD+1], s[sgprSrdD+1], 0        // incToNextRow: gra SRD += inc(upper)
v_mov_b32 v10, 32                                  // set shift rows
_v_add_u32 v5, v5, v10                             // shift storeRemap coord1

s_waitcnt vmcnt(3)                                 // wait C (interleaved) 3 = 4 - 0 + 0 - 1
v_mul_lo_u32 v16, s[sgprBeta], v16                 // C = C*beta
_v_add_u32 v[vgprValuC+20], v16, v[vgprValuC+20]   // finalSum = sum*alpha + C*beta
v_mul_lo_u32 v17, s[sgprBeta], v17                 // C = C*beta
_v_add_u32 v[vgprValuC+21], v17, v[vgprValuC+21]   // finalSum = sum*alpha + C*beta
	;; [unrolled: 2-line block ×4, first 2 shown]
_ds_store_b128 v7, v[20:23], offset:0              // storeRemap lw

s_waitcnt vmcnt(2)                                 // wait C (interleaved) 2 = 4 - 1 + 0 - 1
v_mul_lo_u32 v24, s[sgprBeta], v24                 // C = C*beta
_v_add_u32 v[vgprValuC+28], v24, v[vgprValuC+28]   // finalSum = sum*alpha + C*beta
v_mul_lo_u32 v25, s[sgprBeta], v25                 // C = C*beta
_v_add_u32 v[vgprValuC+29], v25, v[vgprValuC+29]   // finalSum = sum*alpha + C*beta
v_mul_lo_u32 v26, s[sgprBeta], v26                 // C = C*beta
_v_add_u32 v[vgprValuC+30], v26, v[vgprValuC+30]   // finalSum = sum*alpha + C*beta
v_mul_lo_u32 v27, s[sgprBeta], v27                 // C = C*beta
_v_add_u32 v[vgprValuC+31], v27, v[vgprValuC+31]   // finalSum = sum*alpha + C*beta
_ds_store_b128 v7, v[28:31], offset:32             // storeRemap lw

s_waitcnt vmcnt(1)                                 // wait C (interleaved) 1 = 4 - 2 + 0 - 1
v_mul_lo_u32 v32, s[sgprBeta], v32                 // C = C*beta
_v_add_u32 v[vgprValuC+36], v32, v[vgprValuC+36]   // finalSum = sum*alpha + C*beta
v_mul_lo_u32 v33, s[sgprBeta], v33                 // C = C*beta
_v_add_u32 v[vgprValuC+37], v33, v[vgprValuC+37]   // finalSum = sum*alpha + C*beta
v_mul_lo_u32 v34, s[sgprBeta], v34                 // C = C*beta
_v_add_u32 v[vgprValuC+38], v34, v[vgprValuC+38]   // finalSum = sum*alpha + C*beta
v_mul_lo_u32 v35, s[sgprBeta], v35                 // C = C*beta
_v_add_u32 v[vgprValuC+39], v35, v[vgprValuC+39]   // finalSum = sum*alpha + C*beta
_ds_store_b128 v7, v[36:39], offset:64             // storeRemap lw
	;; [unrolled: 11-line block ×3, first 2 shown]

/* Handle local read and global write */
s_waitcnt lgkmcnt(0)                               // wait for LDS write
s_barrier //wait all lds write finished

_ds_load_b128 v[16:19], v8, offset:0               // storeRemap lr
_ds_load_b128 v[20:23], v8, offset:1056            // storeRemap lr
_ds_load_b128 v[24:27], v8, offset:2112            // storeRemap lr
	;; [unrolled: 1-line block ×3, first 2 shown]

v_mov_b32 v13, v6                                  // coord1
v_mul_lo_u32 v13, v13, s[sgprStrideD1J]            // coord1 offset =  coord1 * StrideD
_v_add_lshl_u32 v13, v13, v4, 0x2                  // global write D address
s_waitcnt lgkmcnt(3)                               // wait for LDS read
_buffer_store_b128 v[16:19], v13, s[sgprSrdD:sgprSrdD+3], 0, offen, offset:0 // store D
_v_add_u32 v13, v6, 2                              // coord1 += nColPerLoad
v_mul_lo_u32 v13, v13, s[sgprStrideD1J]            // coord1 offset =  coord1 * StrideD
_v_add_lshl_u32 v13, v13, v4, 0x2                  // global write D address
s_waitcnt lgkmcnt(2)                               // wait for LDS read
_buffer_store_b128 v[20:23], v13, s[sgprSrdD:sgprSrdD+3], 0, offen, offset:0 // store D
_v_add_u32 v13, v6, 4                              // coord1 += nColPerLoad
	;; [unrolled: 5-line block ×3, first 2 shown]
v_mul_lo_u32 v13, v13, s[sgprStrideD1J]            // coord1 offset =  coord1 * StrideD
_v_add_lshl_u32 v13, v13, v4, 0x2                  // global write D address
s_waitcnt lgkmcnt(0)                               // wait for LDS read
_buffer_store_b128 v[28:31], v13, s[sgprSrdD:sgprSrdD+3], 0, offen, offset:0 // store D

s_barrier //wait all lds read finished
s_nop 0                                            // 1 wait state required when next inst writes vgprs held by previous dwordx4 store inst
/* optSingleColVgpr=1 optSharedColVgpr=0 optSGPRUsage=BufferLoad_Mask optSrdIncForRow=1 */

/******************************************/
/* Global Write Alpha Beta Batch #3 (d1,d0,vc1,vc0) = */
/*    (3,0,0,0:vw4); (3,1,0,0:vw4); (3,2,0,0:vw4); (3,3,0,0:vw4) */
/******************************************/

/* calc coords, apply mask, and issue loads (if necessary) */
/* (d1,vc1,d0,vc0)=(3,0,0,0) */
s_mul_i32 s54, s[sgprStrideC1J], 128               // scale StrideC *= numRows(32) * bpe
s_add_u32  s[sgprSrdC+0], s[sgprSrdC+0], s54       // incToNextRow: gra SRD += inc(lower)
s_addc_u32  s[sgprSrdC+1], s[sgprSrdC+1], 0        // incToNextRow: gra SRD += inc(upper)
_buffer_load_b128 v[16:19], v12, s[sgprSrdC:sgprSrdC+3], 0, offen offset:0 // load C for beta calc
/* (d1,vc1,d0,vc0)=(3,0,1,0) */
_buffer_load_b128 v[24:27], v12, s[sgprSrdC:sgprSrdC+3], 0, offen offset:32 // load C for beta calc
/* (d1,vc1,d0,vc0)=(3,0,2,0) */
	;; [unrolled: 2-line block ×3, first 2 shown]
_buffer_load_b128 v[40:43], v12, s[sgprSrdC:sgprSrdC+3], 0, offen offset:96 // load C for beta calc
v_accvgpr_read_b32 v[vgprValuC+20], acc48 // copy acc to vreg[48]
v_accvgpr_read_b32 v[vgprValuC+21], acc49 // copy acc to vreg[49]
v_accvgpr_read_b32 v[vgprValuC+22], acc50 // copy acc to vreg[50]
v_accvgpr_read_b32 v[vgprValuC+23], acc51 // copy acc to vreg[51]
v_accvgpr_read_b32 v[vgprValuC+28], acc52 // copy acc to vreg[52]
v_accvgpr_read_b32 v[vgprValuC+29], acc53 // copy acc to vreg[53]
v_accvgpr_read_b32 v[vgprValuC+30], acc54 // copy acc to vreg[54]
v_accvgpr_read_b32 v[vgprValuC+31], acc55 // copy acc to vreg[55]
v_accvgpr_read_b32 v[vgprValuC+36], acc56 // copy acc to vreg[56]
v_accvgpr_read_b32 v[vgprValuC+37], acc57 // copy acc to vreg[57]
v_accvgpr_read_b32 v[vgprValuC+38], acc58 // copy acc to vreg[58]
v_accvgpr_read_b32 v[vgprValuC+39], acc59 // copy acc to vreg[59]
v_accvgpr_read_b32 v[vgprValuC+44], acc60 // copy acc to vreg[60]
v_accvgpr_read_b32 v[vgprValuC+45], acc61 // copy acc to vreg[61]
v_accvgpr_read_b32 v[vgprValuC+46], acc62 // copy acc to vreg[62]
v_accvgpr_read_b32 v[vgprValuC+47], acc63 // copy acc to vreg[63]
s_nop 1                                            // 2 wait states required before reading vgpr

/* rC *= alpha batchElements=[(3, 0, 0, 0), (3, 1, 0, 0), (3, 2, 0, 0), (3, 3, 0, 0)] */
v_mul_lo_u32 v[vgprValuC+20], s[sgprAlpha], v[vgprValuC+20] // *= alpha
v_mul_lo_u32 v[vgprValuC+21], s[sgprAlpha], v[vgprValuC+21] // *= alpha
	;; [unrolled: 1-line block ×16, first 2 shown]

/* apply mask, calc new C and issue writes */

/* StoreRemap: shift coord1 address */
s_mul_i32 s54, s[sgprStrideD1J], 128               // scale StrideD *= numRows(32) * bpe
s_add_u32  s[sgprSrdD+0], s[sgprSrdD+0], s54       // incToNextRow: gra SRD += inc(lower)
s_addc_u32  s[sgprSrdD+1], s[sgprSrdD+1], 0        // incToNextRow: gra SRD += inc(upper)
v_mov_b32 v10, 32                                  // set shift rows
_v_add_u32 v5, v5, v10                             // shift storeRemap coord1

s_waitcnt vmcnt(3)                                 // wait C (interleaved) 3 = 4 - 0 + 0 - 1
v_mul_lo_u32 v16, s[sgprBeta], v16                 // C = C*beta
_v_add_u32 v[vgprValuC+20], v16, v[vgprValuC+20]   // finalSum = sum*alpha + C*beta
v_mul_lo_u32 v17, s[sgprBeta], v17                 // C = C*beta
_v_add_u32 v[vgprValuC+21], v17, v[vgprValuC+21]   // finalSum = sum*alpha + C*beta
	;; [unrolled: 2-line block ×4, first 2 shown]
_ds_store_b128 v7, v[20:23], offset:0              // storeRemap lw

s_waitcnt vmcnt(2)                                 // wait C (interleaved) 2 = 4 - 1 + 0 - 1
v_mul_lo_u32 v24, s[sgprBeta], v24                 // C = C*beta
_v_add_u32 v[vgprValuC+28], v24, v[vgprValuC+28]   // finalSum = sum*alpha + C*beta
v_mul_lo_u32 v25, s[sgprBeta], v25                 // C = C*beta
_v_add_u32 v[vgprValuC+29], v25, v[vgprValuC+29]   // finalSum = sum*alpha + C*beta
v_mul_lo_u32 v26, s[sgprBeta], v26                 // C = C*beta
_v_add_u32 v[vgprValuC+30], v26, v[vgprValuC+30]   // finalSum = sum*alpha + C*beta
v_mul_lo_u32 v27, s[sgprBeta], v27                 // C = C*beta
_v_add_u32 v[vgprValuC+31], v27, v[vgprValuC+31]   // finalSum = sum*alpha + C*beta
_ds_store_b128 v7, v[28:31], offset:32             // storeRemap lw

s_waitcnt vmcnt(1)                                 // wait C (interleaved) 1 = 4 - 2 + 0 - 1
v_mul_lo_u32 v32, s[sgprBeta], v32                 // C = C*beta
_v_add_u32 v[vgprValuC+36], v32, v[vgprValuC+36]   // finalSum = sum*alpha + C*beta
v_mul_lo_u32 v33, s[sgprBeta], v33                 // C = C*beta
_v_add_u32 v[vgprValuC+37], v33, v[vgprValuC+37]   // finalSum = sum*alpha + C*beta
v_mul_lo_u32 v34, s[sgprBeta], v34                 // C = C*beta
_v_add_u32 v[vgprValuC+38], v34, v[vgprValuC+38]   // finalSum = sum*alpha + C*beta
v_mul_lo_u32 v35, s[sgprBeta], v35                 // C = C*beta
_v_add_u32 v[vgprValuC+39], v35, v[vgprValuC+39]   // finalSum = sum*alpha + C*beta
_ds_store_b128 v7, v[36:39], offset:64             // storeRemap lw
	;; [unrolled: 11-line block ×3, first 2 shown]

/* Handle local read and global write */
s_waitcnt lgkmcnt(0)                               // wait for LDS write
s_barrier //wait all lds write finished

_ds_load_b128 v[16:19], v8, offset:0               // storeRemap lr
_ds_load_b128 v[20:23], v8, offset:1056            // storeRemap lr
_ds_load_b128 v[24:27], v8, offset:2112            // storeRemap lr
	;; [unrolled: 1-line block ×3, first 2 shown]

v_mov_b32 v13, v6                                  // coord1
v_mul_lo_u32 v13, v13, s[sgprStrideD1J]            // coord1 offset =  coord1 * StrideD
_v_add_lshl_u32 v13, v13, v4, 0x2                  // global write D address
s_waitcnt lgkmcnt(3)                               // wait for LDS read
_buffer_store_b128 v[16:19], v13, s[sgprSrdD:sgprSrdD+3], 0, offen, offset:0 // store D
_v_add_u32 v13, v6, 2                              // coord1 += nColPerLoad
v_mul_lo_u32 v13, v13, s[sgprStrideD1J]            // coord1 offset =  coord1 * StrideD
_v_add_lshl_u32 v13, v13, v4, 0x2                  // global write D address
s_waitcnt lgkmcnt(2)                               // wait for LDS read
_buffer_store_b128 v[20:23], v13, s[sgprSrdD:sgprSrdD+3], 0, offen, offset:0 // store D
_v_add_u32 v13, v6, 4                              // coord1 += nColPerLoad
	;; [unrolled: 5-line block ×3, first 2 shown]
v_mul_lo_u32 v13, v13, s[sgprStrideD1J]            // coord1 offset =  coord1 * StrideD
_v_add_lshl_u32 v13, v13, v4, 0x2                  // global write D address
s_waitcnt lgkmcnt(0)                               // wait for LDS read
_buffer_store_b128 v[28:31], v13, s[sgprSrdD:sgprSrdD+3], 0, offen, offset:0 // store D

s_barrier //wait all lds read finished
s_nop 0                                            // 1 wait state required when next inst writes vgprs held by previous dwordx4 store inst
/* optSingleColVgpr=1 optSharedColVgpr=0 optSGPRUsage=BufferLoad_Mask optSrdIncForRow=1 */

/******************************************/
/* Global Write Alpha Beta Batch #4 (d1,d0,vc1,vc0) = */
/*    (4,0,0,0:vw4); (4,1,0,0:vw4); (4,2,0,0:vw4); (4,3,0,0:vw4) */
/******************************************/

/* calc coords, apply mask, and issue loads (if necessary) */
/* (d1,vc1,d0,vc0)=(4,0,0,0) */
s_mul_i32 s54, s[sgprStrideC1J], 128               // scale StrideC *= numRows(32) * bpe
s_add_u32  s[sgprSrdC+0], s[sgprSrdC+0], s54       // incToNextRow: gra SRD += inc(lower)
s_addc_u32  s[sgprSrdC+1], s[sgprSrdC+1], 0        // incToNextRow: gra SRD += inc(upper)
_buffer_load_b128 v[16:19], v12, s[sgprSrdC:sgprSrdC+3], 0, offen offset:0 // load C for beta calc
/* (d1,vc1,d0,vc0)=(4,0,1,0) */
_buffer_load_b128 v[24:27], v12, s[sgprSrdC:sgprSrdC+3], 0, offen offset:32 // load C for beta calc
/* (d1,vc1,d0,vc0)=(4,0,2,0) */
	;; [unrolled: 2-line block ×3, first 2 shown]
_buffer_load_b128 v[40:43], v12, s[sgprSrdC:sgprSrdC+3], 0, offen offset:96 // load C for beta calc
v_accvgpr_read_b32 v[vgprValuC+20], acc64 // copy acc to vreg[64]
v_accvgpr_read_b32 v[vgprValuC+21], acc65 // copy acc to vreg[65]
v_accvgpr_read_b32 v[vgprValuC+22], acc66 // copy acc to vreg[66]
v_accvgpr_read_b32 v[vgprValuC+23], acc67 // copy acc to vreg[67]
v_accvgpr_read_b32 v[vgprValuC+28], acc68 // copy acc to vreg[68]
v_accvgpr_read_b32 v[vgprValuC+29], acc69 // copy acc to vreg[69]
v_accvgpr_read_b32 v[vgprValuC+30], acc70 // copy acc to vreg[70]
v_accvgpr_read_b32 v[vgprValuC+31], acc71 // copy acc to vreg[71]
v_accvgpr_read_b32 v[vgprValuC+36], acc72 // copy acc to vreg[72]
v_accvgpr_read_b32 v[vgprValuC+37], acc73 // copy acc to vreg[73]
v_accvgpr_read_b32 v[vgprValuC+38], acc74 // copy acc to vreg[74]
v_accvgpr_read_b32 v[vgprValuC+39], acc75 // copy acc to vreg[75]
v_accvgpr_read_b32 v[vgprValuC+44], acc76 // copy acc to vreg[76]
v_accvgpr_read_b32 v[vgprValuC+45], acc77 // copy acc to vreg[77]
v_accvgpr_read_b32 v[vgprValuC+46], acc78 // copy acc to vreg[78]
v_accvgpr_read_b32 v[vgprValuC+47], acc79 // copy acc to vreg[79]
s_nop 1                                            // 2 wait states required before reading vgpr

/* rC *= alpha batchElements=[(4, 0, 0, 0), (4, 1, 0, 0), (4, 2, 0, 0), (4, 3, 0, 0)] */
v_mul_lo_u32 v[vgprValuC+20], s[sgprAlpha], v[vgprValuC+20] // *= alpha
v_mul_lo_u32 v[vgprValuC+21], s[sgprAlpha], v[vgprValuC+21] // *= alpha
	;; [unrolled: 1-line block ×16, first 2 shown]

/* apply mask, calc new C and issue writes */

/* StoreRemap: shift coord1 address */
s_mul_i32 s54, s[sgprStrideD1J], 128               // scale StrideD *= numRows(32) * bpe
s_add_u32  s[sgprSrdD+0], s[sgprSrdD+0], s54       // incToNextRow: gra SRD += inc(lower)
s_addc_u32  s[sgprSrdD+1], s[sgprSrdD+1], 0        // incToNextRow: gra SRD += inc(upper)
v_mov_b32 v10, 32                                  // set shift rows
_v_add_u32 v5, v5, v10                             // shift storeRemap coord1

s_waitcnt vmcnt(3)                                 // wait C (interleaved) 3 = 4 - 0 + 0 - 1
v_mul_lo_u32 v16, s[sgprBeta], v16                 // C = C*beta
_v_add_u32 v[vgprValuC+20], v16, v[vgprValuC+20]   // finalSum = sum*alpha + C*beta
v_mul_lo_u32 v17, s[sgprBeta], v17                 // C = C*beta
_v_add_u32 v[vgprValuC+21], v17, v[vgprValuC+21]   // finalSum = sum*alpha + C*beta
	;; [unrolled: 2-line block ×4, first 2 shown]
_ds_store_b128 v7, v[20:23], offset:0              // storeRemap lw

s_waitcnt vmcnt(2)                                 // wait C (interleaved) 2 = 4 - 1 + 0 - 1
v_mul_lo_u32 v24, s[sgprBeta], v24                 // C = C*beta
_v_add_u32 v[vgprValuC+28], v24, v[vgprValuC+28]   // finalSum = sum*alpha + C*beta
v_mul_lo_u32 v25, s[sgprBeta], v25                 // C = C*beta
_v_add_u32 v[vgprValuC+29], v25, v[vgprValuC+29]   // finalSum = sum*alpha + C*beta
v_mul_lo_u32 v26, s[sgprBeta], v26                 // C = C*beta
_v_add_u32 v[vgprValuC+30], v26, v[vgprValuC+30]   // finalSum = sum*alpha + C*beta
v_mul_lo_u32 v27, s[sgprBeta], v27                 // C = C*beta
_v_add_u32 v[vgprValuC+31], v27, v[vgprValuC+31]   // finalSum = sum*alpha + C*beta
_ds_store_b128 v7, v[28:31], offset:32             // storeRemap lw

s_waitcnt vmcnt(1)                                 // wait C (interleaved) 1 = 4 - 2 + 0 - 1
v_mul_lo_u32 v32, s[sgprBeta], v32                 // C = C*beta
_v_add_u32 v[vgprValuC+36], v32, v[vgprValuC+36]   // finalSum = sum*alpha + C*beta
v_mul_lo_u32 v33, s[sgprBeta], v33                 // C = C*beta
_v_add_u32 v[vgprValuC+37], v33, v[vgprValuC+37]   // finalSum = sum*alpha + C*beta
v_mul_lo_u32 v34, s[sgprBeta], v34                 // C = C*beta
_v_add_u32 v[vgprValuC+38], v34, v[vgprValuC+38]   // finalSum = sum*alpha + C*beta
v_mul_lo_u32 v35, s[sgprBeta], v35                 // C = C*beta
_v_add_u32 v[vgprValuC+39], v35, v[vgprValuC+39]   // finalSum = sum*alpha + C*beta
_ds_store_b128 v7, v[36:39], offset:64             // storeRemap lw
	;; [unrolled: 11-line block ×3, first 2 shown]

/* Handle local read and global write */
s_waitcnt lgkmcnt(0)                               // wait for LDS write
s_barrier //wait all lds write finished

_ds_load_b128 v[16:19], v8, offset:0               // storeRemap lr
_ds_load_b128 v[20:23], v8, offset:1056            // storeRemap lr
_ds_load_b128 v[24:27], v8, offset:2112            // storeRemap lr
	;; [unrolled: 1-line block ×3, first 2 shown]

v_mov_b32 v13, v6                                  // coord1
v_mul_lo_u32 v13, v13, s[sgprStrideD1J]            // coord1 offset =  coord1 * StrideD
_v_add_lshl_u32 v13, v13, v4, 0x2                  // global write D address
s_waitcnt lgkmcnt(3)                               // wait for LDS read
_buffer_store_b128 v[16:19], v13, s[sgprSrdD:sgprSrdD+3], 0, offen, offset:0 // store D
_v_add_u32 v13, v6, 2                              // coord1 += nColPerLoad
v_mul_lo_u32 v13, v13, s[sgprStrideD1J]            // coord1 offset =  coord1 * StrideD
_v_add_lshl_u32 v13, v13, v4, 0x2                  // global write D address
s_waitcnt lgkmcnt(2)                               // wait for LDS read
_buffer_store_b128 v[20:23], v13, s[sgprSrdD:sgprSrdD+3], 0, offen, offset:0 // store D
_v_add_u32 v13, v6, 4                              // coord1 += nColPerLoad
	;; [unrolled: 5-line block ×3, first 2 shown]
v_mul_lo_u32 v13, v13, s[sgprStrideD1J]            // coord1 offset =  coord1 * StrideD
_v_add_lshl_u32 v13, v13, v4, 0x2                  // global write D address
s_waitcnt lgkmcnt(0)                               // wait for LDS read
_buffer_store_b128 v[28:31], v13, s[sgprSrdD:sgprSrdD+3], 0, offen, offset:0 // store D

s_barrier //wait all lds read finished
s_nop 0                                            // 1 wait state required when next inst writes vgprs held by previous dwordx4 store inst
/* optSingleColVgpr=1 optSharedColVgpr=0 optSGPRUsage=BufferLoad_Mask optSrdIncForRow=1 */

/******************************************/
/* Global Write Alpha Beta Batch #5 (d1,d0,vc1,vc0) = */
/*    (5,0,0,0:vw4); (5,1,0,0:vw4); (5,2,0,0:vw4); (5,3,0,0:vw4) */
/******************************************/

/* calc coords, apply mask, and issue loads (if necessary) */
/* (d1,vc1,d0,vc0)=(5,0,0,0) */
s_mul_i32 s54, s[sgprStrideC1J], 128               // scale StrideC *= numRows(32) * bpe
s_add_u32  s[sgprSrdC+0], s[sgprSrdC+0], s54       // incToNextRow: gra SRD += inc(lower)
s_addc_u32  s[sgprSrdC+1], s[sgprSrdC+1], 0        // incToNextRow: gra SRD += inc(upper)
_buffer_load_b128 v[16:19], v12, s[sgprSrdC:sgprSrdC+3], 0, offen offset:0 // load C for beta calc
/* (d1,vc1,d0,vc0)=(5,0,1,0) */
_buffer_load_b128 v[24:27], v12, s[sgprSrdC:sgprSrdC+3], 0, offen offset:32 // load C for beta calc
/* (d1,vc1,d0,vc0)=(5,0,2,0) */
	;; [unrolled: 2-line block ×3, first 2 shown]
_buffer_load_b128 v[40:43], v12, s[sgprSrdC:sgprSrdC+3], 0, offen offset:96 // load C for beta calc
v_accvgpr_read_b32 v[vgprValuC+20], acc80 // copy acc to vreg[80]
v_accvgpr_read_b32 v[vgprValuC+21], acc81 // copy acc to vreg[81]
v_accvgpr_read_b32 v[vgprValuC+22], acc82 // copy acc to vreg[82]
v_accvgpr_read_b32 v[vgprValuC+23], acc83 // copy acc to vreg[83]
v_accvgpr_read_b32 v[vgprValuC+28], acc84 // copy acc to vreg[84]
v_accvgpr_read_b32 v[vgprValuC+29], acc85 // copy acc to vreg[85]
v_accvgpr_read_b32 v[vgprValuC+30], acc86 // copy acc to vreg[86]
v_accvgpr_read_b32 v[vgprValuC+31], acc87 // copy acc to vreg[87]
v_accvgpr_read_b32 v[vgprValuC+36], acc88 // copy acc to vreg[88]
v_accvgpr_read_b32 v[vgprValuC+37], acc89 // copy acc to vreg[89]
v_accvgpr_read_b32 v[vgprValuC+38], acc90 // copy acc to vreg[90]
v_accvgpr_read_b32 v[vgprValuC+39], acc91 // copy acc to vreg[91]
v_accvgpr_read_b32 v[vgprValuC+44], acc92 // copy acc to vreg[92]
v_accvgpr_read_b32 v[vgprValuC+45], acc93 // copy acc to vreg[93]
v_accvgpr_read_b32 v[vgprValuC+46], acc94 // copy acc to vreg[94]
v_accvgpr_read_b32 v[vgprValuC+47], acc95 // copy acc to vreg[95]
s_nop 1                                            // 2 wait states required before reading vgpr

/* rC *= alpha batchElements=[(5, 0, 0, 0), (5, 1, 0, 0), (5, 2, 0, 0), (5, 3, 0, 0)] */
v_mul_lo_u32 v[vgprValuC+20], s[sgprAlpha], v[vgprValuC+20] // *= alpha
v_mul_lo_u32 v[vgprValuC+21], s[sgprAlpha], v[vgprValuC+21] // *= alpha
	;; [unrolled: 1-line block ×16, first 2 shown]

/* apply mask, calc new C and issue writes */

/* StoreRemap: shift coord1 address */
s_mul_i32 s54, s[sgprStrideD1J], 128               // scale StrideD *= numRows(32) * bpe
s_add_u32  s[sgprSrdD+0], s[sgprSrdD+0], s54       // incToNextRow: gra SRD += inc(lower)
s_addc_u32  s[sgprSrdD+1], s[sgprSrdD+1], 0        // incToNextRow: gra SRD += inc(upper)
v_mov_b32 v10, 32                                  // set shift rows
_v_add_u32 v5, v5, v10                             // shift storeRemap coord1

s_waitcnt vmcnt(3)                                 // wait C (interleaved) 3 = 4 - 0 + 0 - 1
v_mul_lo_u32 v16, s[sgprBeta], v16                 // C = C*beta
_v_add_u32 v[vgprValuC+20], v16, v[vgprValuC+20]   // finalSum = sum*alpha + C*beta
v_mul_lo_u32 v17, s[sgprBeta], v17                 // C = C*beta
_v_add_u32 v[vgprValuC+21], v17, v[vgprValuC+21]   // finalSum = sum*alpha + C*beta
	;; [unrolled: 2-line block ×4, first 2 shown]
_ds_store_b128 v7, v[20:23], offset:0              // storeRemap lw

s_waitcnt vmcnt(2)                                 // wait C (interleaved) 2 = 4 - 1 + 0 - 1
v_mul_lo_u32 v24, s[sgprBeta], v24                 // C = C*beta
_v_add_u32 v[vgprValuC+28], v24, v[vgprValuC+28]   // finalSum = sum*alpha + C*beta
v_mul_lo_u32 v25, s[sgprBeta], v25                 // C = C*beta
_v_add_u32 v[vgprValuC+29], v25, v[vgprValuC+29]   // finalSum = sum*alpha + C*beta
v_mul_lo_u32 v26, s[sgprBeta], v26                 // C = C*beta
_v_add_u32 v[vgprValuC+30], v26, v[vgprValuC+30]   // finalSum = sum*alpha + C*beta
v_mul_lo_u32 v27, s[sgprBeta], v27                 // C = C*beta
_v_add_u32 v[vgprValuC+31], v27, v[vgprValuC+31]   // finalSum = sum*alpha + C*beta
_ds_store_b128 v7, v[28:31], offset:32             // storeRemap lw

s_waitcnt vmcnt(1)                                 // wait C (interleaved) 1 = 4 - 2 + 0 - 1
v_mul_lo_u32 v32, s[sgprBeta], v32                 // C = C*beta
_v_add_u32 v[vgprValuC+36], v32, v[vgprValuC+36]   // finalSum = sum*alpha + C*beta
v_mul_lo_u32 v33, s[sgprBeta], v33                 // C = C*beta
_v_add_u32 v[vgprValuC+37], v33, v[vgprValuC+37]   // finalSum = sum*alpha + C*beta
v_mul_lo_u32 v34, s[sgprBeta], v34                 // C = C*beta
_v_add_u32 v[vgprValuC+38], v34, v[vgprValuC+38]   // finalSum = sum*alpha + C*beta
v_mul_lo_u32 v35, s[sgprBeta], v35                 // C = C*beta
_v_add_u32 v[vgprValuC+39], v35, v[vgprValuC+39]   // finalSum = sum*alpha + C*beta
_ds_store_b128 v7, v[36:39], offset:64             // storeRemap lw
	;; [unrolled: 11-line block ×3, first 2 shown]

/* Handle local read and global write */
s_waitcnt lgkmcnt(0)                               // wait for LDS write
s_barrier //wait all lds write finished

_ds_load_b128 v[16:19], v8, offset:0               // storeRemap lr
_ds_load_b128 v[20:23], v8, offset:1056            // storeRemap lr
_ds_load_b128 v[24:27], v8, offset:2112            // storeRemap lr
	;; [unrolled: 1-line block ×3, first 2 shown]

v_mov_b32 v13, v6                                  // coord1
v_mul_lo_u32 v13, v13, s[sgprStrideD1J]            // coord1 offset =  coord1 * StrideD
_v_add_lshl_u32 v13, v13, v4, 0x2                  // global write D address
s_waitcnt lgkmcnt(3)                               // wait for LDS read
_buffer_store_b128 v[16:19], v13, s[sgprSrdD:sgprSrdD+3], 0, offen, offset:0 // store D
_v_add_u32 v13, v6, 2                              // coord1 += nColPerLoad
v_mul_lo_u32 v13, v13, s[sgprStrideD1J]            // coord1 offset =  coord1 * StrideD
_v_add_lshl_u32 v13, v13, v4, 0x2                  // global write D address
s_waitcnt lgkmcnt(2)                               // wait for LDS read
_buffer_store_b128 v[20:23], v13, s[sgprSrdD:sgprSrdD+3], 0, offen, offset:0 // store D
_v_add_u32 v13, v6, 4                              // coord1 += nColPerLoad
	;; [unrolled: 5-line block ×3, first 2 shown]
v_mul_lo_u32 v13, v13, s[sgprStrideD1J]            // coord1 offset =  coord1 * StrideD
_v_add_lshl_u32 v13, v13, v4, 0x2                  // global write D address
s_waitcnt lgkmcnt(0)                               // wait for LDS read
_buffer_store_b128 v[28:31], v13, s[sgprSrdD:sgprSrdD+3], 0, offen, offset:0 // store D

s_barrier //wait all lds read finished
s_nop 0                                            // 1 wait state required when next inst writes vgprs held by previous dwordx4 store inst
/* optSingleColVgpr=1 optSharedColVgpr=0 optSGPRUsage=BufferLoad_Mask optSrdIncForRow=1 */

/******************************************/
/* Global Write Alpha Beta Batch #6 (d1,d0,vc1,vc0) = */
/*    (6,0,0,0:vw4); (6,1,0,0:vw4); (6,2,0,0:vw4); (6,3,0,0:vw4) */
/******************************************/

/* calc coords, apply mask, and issue loads (if necessary) */
/* (d1,vc1,d0,vc0)=(6,0,0,0) */
s_mul_i32 s54, s[sgprStrideC1J], 128               // scale StrideC *= numRows(32) * bpe
s_add_u32  s[sgprSrdC+0], s[sgprSrdC+0], s54       // incToNextRow: gra SRD += inc(lower)
s_addc_u32  s[sgprSrdC+1], s[sgprSrdC+1], 0        // incToNextRow: gra SRD += inc(upper)
_buffer_load_b128 v[16:19], v12, s[sgprSrdC:sgprSrdC+3], 0, offen offset:0 // load C for beta calc
/* (d1,vc1,d0,vc0)=(6,0,1,0) */
_buffer_load_b128 v[24:27], v12, s[sgprSrdC:sgprSrdC+3], 0, offen offset:32 // load C for beta calc
/* (d1,vc1,d0,vc0)=(6,0,2,0) */
	;; [unrolled: 2-line block ×3, first 2 shown]
_buffer_load_b128 v[40:43], v12, s[sgprSrdC:sgprSrdC+3], 0, offen offset:96 // load C for beta calc
v_accvgpr_read_b32 v[vgprValuC+20], acc96 // copy acc to vreg[96]
v_accvgpr_read_b32 v[vgprValuC+21], acc97 // copy acc to vreg[97]
v_accvgpr_read_b32 v[vgprValuC+22], acc98 // copy acc to vreg[98]
v_accvgpr_read_b32 v[vgprValuC+23], acc99 // copy acc to vreg[99]
v_accvgpr_read_b32 v[vgprValuC+28], acc100 // copy acc to vreg[100]
v_accvgpr_read_b32 v[vgprValuC+29], acc101 // copy acc to vreg[101]
v_accvgpr_read_b32 v[vgprValuC+30], acc102 // copy acc to vreg[102]
v_accvgpr_read_b32 v[vgprValuC+31], acc103 // copy acc to vreg[103]
v_accvgpr_read_b32 v[vgprValuC+36], acc104 // copy acc to vreg[104]
v_accvgpr_read_b32 v[vgprValuC+37], acc105 // copy acc to vreg[105]
v_accvgpr_read_b32 v[vgprValuC+38], acc106 // copy acc to vreg[106]
v_accvgpr_read_b32 v[vgprValuC+39], acc107 // copy acc to vreg[107]
v_accvgpr_read_b32 v[vgprValuC+44], acc108 // copy acc to vreg[108]
v_accvgpr_read_b32 v[vgprValuC+45], acc109 // copy acc to vreg[109]
v_accvgpr_read_b32 v[vgprValuC+46], acc110 // copy acc to vreg[110]
v_accvgpr_read_b32 v[vgprValuC+47], acc111 // copy acc to vreg[111]
s_nop 1                                            // 2 wait states required before reading vgpr

/* rC *= alpha batchElements=[(6, 0, 0, 0), (6, 1, 0, 0), (6, 2, 0, 0), (6, 3, 0, 0)] */
v_mul_lo_u32 v[vgprValuC+20], s[sgprAlpha], v[vgprValuC+20] // *= alpha
v_mul_lo_u32 v[vgprValuC+21], s[sgprAlpha], v[vgprValuC+21] // *= alpha
	;; [unrolled: 1-line block ×16, first 2 shown]

/* apply mask, calc new C and issue writes */

/* StoreRemap: shift coord1 address */
s_mul_i32 s54, s[sgprStrideD1J], 128               // scale StrideD *= numRows(32) * bpe
s_add_u32  s[sgprSrdD+0], s[sgprSrdD+0], s54       // incToNextRow: gra SRD += inc(lower)
s_addc_u32  s[sgprSrdD+1], s[sgprSrdD+1], 0        // incToNextRow: gra SRD += inc(upper)
v_mov_b32 v10, 32                                  // set shift rows
_v_add_u32 v5, v5, v10                             // shift storeRemap coord1

s_waitcnt vmcnt(3)                                 // wait C (interleaved) 3 = 4 - 0 + 0 - 1
v_mul_lo_u32 v16, s[sgprBeta], v16                 // C = C*beta
_v_add_u32 v[vgprValuC+20], v16, v[vgprValuC+20]   // finalSum = sum*alpha + C*beta
v_mul_lo_u32 v17, s[sgprBeta], v17                 // C = C*beta
_v_add_u32 v[vgprValuC+21], v17, v[vgprValuC+21]   // finalSum = sum*alpha + C*beta
	;; [unrolled: 2-line block ×4, first 2 shown]
_ds_store_b128 v7, v[20:23], offset:0              // storeRemap lw

s_waitcnt vmcnt(2)                                 // wait C (interleaved) 2 = 4 - 1 + 0 - 1
v_mul_lo_u32 v24, s[sgprBeta], v24                 // C = C*beta
_v_add_u32 v[vgprValuC+28], v24, v[vgprValuC+28]   // finalSum = sum*alpha + C*beta
v_mul_lo_u32 v25, s[sgprBeta], v25                 // C = C*beta
_v_add_u32 v[vgprValuC+29], v25, v[vgprValuC+29]   // finalSum = sum*alpha + C*beta
v_mul_lo_u32 v26, s[sgprBeta], v26                 // C = C*beta
_v_add_u32 v[vgprValuC+30], v26, v[vgprValuC+30]   // finalSum = sum*alpha + C*beta
v_mul_lo_u32 v27, s[sgprBeta], v27                 // C = C*beta
_v_add_u32 v[vgprValuC+31], v27, v[vgprValuC+31]   // finalSum = sum*alpha + C*beta
_ds_store_b128 v7, v[28:31], offset:32             // storeRemap lw

s_waitcnt vmcnt(1)                                 // wait C (interleaved) 1 = 4 - 2 + 0 - 1
v_mul_lo_u32 v32, s[sgprBeta], v32                 // C = C*beta
_v_add_u32 v[vgprValuC+36], v32, v[vgprValuC+36]   // finalSum = sum*alpha + C*beta
v_mul_lo_u32 v33, s[sgprBeta], v33                 // C = C*beta
_v_add_u32 v[vgprValuC+37], v33, v[vgprValuC+37]   // finalSum = sum*alpha + C*beta
v_mul_lo_u32 v34, s[sgprBeta], v34                 // C = C*beta
_v_add_u32 v[vgprValuC+38], v34, v[vgprValuC+38]   // finalSum = sum*alpha + C*beta
v_mul_lo_u32 v35, s[sgprBeta], v35                 // C = C*beta
_v_add_u32 v[vgprValuC+39], v35, v[vgprValuC+39]   // finalSum = sum*alpha + C*beta
_ds_store_b128 v7, v[36:39], offset:64             // storeRemap lw
	;; [unrolled: 11-line block ×3, first 2 shown]

/* Handle local read and global write */
s_waitcnt lgkmcnt(0)                               // wait for LDS write
s_barrier //wait all lds write finished

_ds_load_b128 v[16:19], v8, offset:0               // storeRemap lr
_ds_load_b128 v[20:23], v8, offset:1056            // storeRemap lr
_ds_load_b128 v[24:27], v8, offset:2112            // storeRemap lr
	;; [unrolled: 1-line block ×3, first 2 shown]

v_mov_b32 v13, v6                                  // coord1
v_mul_lo_u32 v13, v13, s[sgprStrideD1J]            // coord1 offset =  coord1 * StrideD
_v_add_lshl_u32 v13, v13, v4, 0x2                  // global write D address
s_waitcnt lgkmcnt(3)                               // wait for LDS read
_buffer_store_b128 v[16:19], v13, s[sgprSrdD:sgprSrdD+3], 0, offen, offset:0 // store D
_v_add_u32 v13, v6, 2                              // coord1 += nColPerLoad
v_mul_lo_u32 v13, v13, s[sgprStrideD1J]            // coord1 offset =  coord1 * StrideD
_v_add_lshl_u32 v13, v13, v4, 0x2                  // global write D address
s_waitcnt lgkmcnt(2)                               // wait for LDS read
_buffer_store_b128 v[20:23], v13, s[sgprSrdD:sgprSrdD+3], 0, offen, offset:0 // store D
_v_add_u32 v13, v6, 4                              // coord1 += nColPerLoad
	;; [unrolled: 5-line block ×3, first 2 shown]
v_mul_lo_u32 v13, v13, s[sgprStrideD1J]            // coord1 offset =  coord1 * StrideD
_v_add_lshl_u32 v13, v13, v4, 0x2                  // global write D address
s_waitcnt lgkmcnt(0)                               // wait for LDS read
_buffer_store_b128 v[28:31], v13, s[sgprSrdD:sgprSrdD+3], 0, offen, offset:0 // store D

s_barrier //wait all lds read finished
s_nop 0                                            // 1 wait state required when next inst writes vgprs held by previous dwordx4 store inst
/* optSingleColVgpr=1 optSharedColVgpr=0 optSGPRUsage=BufferLoad_Mask optSrdIncForRow=1 */

/******************************************/
/* Global Write Alpha Beta Batch #7 (d1,d0,vc1,vc0) = */
/*    (7,0,0,0:vw4); (7,1,0,0:vw4); (7,2,0,0:vw4); (7,3,0,0:vw4) */
/******************************************/

/* calc coords, apply mask, and issue loads (if necessary) */
/* (d1,vc1,d0,vc0)=(7,0,0,0) */
s_mul_i32 s54, s[sgprStrideC1J], 128               // scale StrideC *= numRows(32) * bpe
s_add_u32  s[sgprSrdC+0], s[sgprSrdC+0], s54       // incToNextRow: gra SRD += inc(lower)
s_addc_u32  s[sgprSrdC+1], s[sgprSrdC+1], 0        // incToNextRow: gra SRD += inc(upper)
_buffer_load_b128 v[16:19], v12, s[sgprSrdC:sgprSrdC+3], 0, offen offset:0 // load C for beta calc
/* (d1,vc1,d0,vc0)=(7,0,1,0) */
_buffer_load_b128 v[24:27], v12, s[sgprSrdC:sgprSrdC+3], 0, offen offset:32 // load C for beta calc
/* (d1,vc1,d0,vc0)=(7,0,2,0) */
	;; [unrolled: 2-line block ×3, first 2 shown]
_buffer_load_b128 v[40:43], v12, s[sgprSrdC:sgprSrdC+3], 0, offen offset:96 // load C for beta calc
v_accvgpr_read_b32 v[vgprValuC+20], acc112 // copy acc to vreg[112]
v_accvgpr_read_b32 v[vgprValuC+21], acc113 // copy acc to vreg[113]
v_accvgpr_read_b32 v[vgprValuC+22], acc114 // copy acc to vreg[114]
v_accvgpr_read_b32 v[vgprValuC+23], acc115 // copy acc to vreg[115]
v_accvgpr_read_b32 v[vgprValuC+28], acc116 // copy acc to vreg[116]
v_accvgpr_read_b32 v[vgprValuC+29], acc117 // copy acc to vreg[117]
v_accvgpr_read_b32 v[vgprValuC+30], acc118 // copy acc to vreg[118]
v_accvgpr_read_b32 v[vgprValuC+31], acc119 // copy acc to vreg[119]
v_accvgpr_read_b32 v[vgprValuC+36], acc120 // copy acc to vreg[120]
v_accvgpr_read_b32 v[vgprValuC+37], acc121 // copy acc to vreg[121]
v_accvgpr_read_b32 v[vgprValuC+38], acc122 // copy acc to vreg[122]
v_accvgpr_read_b32 v[vgprValuC+39], acc123 // copy acc to vreg[123]
v_accvgpr_read_b32 v[vgprValuC+44], acc124 // copy acc to vreg[124]
v_accvgpr_read_b32 v[vgprValuC+45], acc125 // copy acc to vreg[125]
v_accvgpr_read_b32 v[vgprValuC+46], acc126 // copy acc to vreg[126]
v_accvgpr_read_b32 v[vgprValuC+47], acc127 // copy acc to vreg[127]
s_nop 1                                            // 2 wait states required before reading vgpr

/* rC *= alpha batchElements=[(7, 0, 0, 0), (7, 1, 0, 0), (7, 2, 0, 0), (7, 3, 0, 0)] */
v_mul_lo_u32 v[vgprValuC+20], s[sgprAlpha], v[vgprValuC+20] // *= alpha
v_mul_lo_u32 v[vgprValuC+21], s[sgprAlpha], v[vgprValuC+21] // *= alpha
	;; [unrolled: 1-line block ×16, first 2 shown]

/* apply mask, calc new C and issue writes */

/* StoreRemap: shift coord1 address */
s_mul_i32 s54, s[sgprStrideD1J], 128               // scale StrideD *= numRows(32) * bpe
s_add_u32  s[sgprSrdD+0], s[sgprSrdD+0], s54       // incToNextRow: gra SRD += inc(lower)
s_addc_u32  s[sgprSrdD+1], s[sgprSrdD+1], 0        // incToNextRow: gra SRD += inc(upper)
v_mov_b32 v10, 32                                  // set shift rows
_v_add_u32 v5, v5, v10                             // shift storeRemap coord1

s_waitcnt vmcnt(3)                                 // wait C (interleaved) 3 = 4 - 0 + 0 - 1
v_mul_lo_u32 v16, s[sgprBeta], v16                 // C = C*beta
_v_add_u32 v[vgprValuC+20], v16, v[vgprValuC+20]   // finalSum = sum*alpha + C*beta
v_mul_lo_u32 v17, s[sgprBeta], v17                 // C = C*beta
_v_add_u32 v[vgprValuC+21], v17, v[vgprValuC+21]   // finalSum = sum*alpha + C*beta
	;; [unrolled: 2-line block ×4, first 2 shown]
_ds_store_b128 v7, v[20:23], offset:0              // storeRemap lw

s_waitcnt vmcnt(2)                                 // wait C (interleaved) 2 = 4 - 1 + 0 - 1
v_mul_lo_u32 v24, s[sgprBeta], v24                 // C = C*beta
_v_add_u32 v[vgprValuC+28], v24, v[vgprValuC+28]   // finalSum = sum*alpha + C*beta
v_mul_lo_u32 v25, s[sgprBeta], v25                 // C = C*beta
_v_add_u32 v[vgprValuC+29], v25, v[vgprValuC+29]   // finalSum = sum*alpha + C*beta
v_mul_lo_u32 v26, s[sgprBeta], v26                 // C = C*beta
_v_add_u32 v[vgprValuC+30], v26, v[vgprValuC+30]   // finalSum = sum*alpha + C*beta
v_mul_lo_u32 v27, s[sgprBeta], v27                 // C = C*beta
_v_add_u32 v[vgprValuC+31], v27, v[vgprValuC+31]   // finalSum = sum*alpha + C*beta
_ds_store_b128 v7, v[28:31], offset:32             // storeRemap lw

s_waitcnt vmcnt(1)                                 // wait C (interleaved) 1 = 4 - 2 + 0 - 1
v_mul_lo_u32 v32, s[sgprBeta], v32                 // C = C*beta
_v_add_u32 v[vgprValuC+36], v32, v[vgprValuC+36]   // finalSum = sum*alpha + C*beta
v_mul_lo_u32 v33, s[sgprBeta], v33                 // C = C*beta
_v_add_u32 v[vgprValuC+37], v33, v[vgprValuC+37]   // finalSum = sum*alpha + C*beta
v_mul_lo_u32 v34, s[sgprBeta], v34                 // C = C*beta
_v_add_u32 v[vgprValuC+38], v34, v[vgprValuC+38]   // finalSum = sum*alpha + C*beta
v_mul_lo_u32 v35, s[sgprBeta], v35                 // C = C*beta
_v_add_u32 v[vgprValuC+39], v35, v[vgprValuC+39]   // finalSum = sum*alpha + C*beta
_ds_store_b128 v7, v[36:39], offset:64             // storeRemap lw
	;; [unrolled: 11-line block ×3, first 2 shown]

/* Handle local read and global write */
s_waitcnt lgkmcnt(0)                               // wait for LDS write
s_barrier //wait all lds write finished

_ds_load_b128 v[16:19], v8, offset:0               // storeRemap lr
_ds_load_b128 v[20:23], v8, offset:1056            // storeRemap lr
_ds_load_b128 v[24:27], v8, offset:2112            // storeRemap lr
	;; [unrolled: 1-line block ×3, first 2 shown]

v_mov_b32 v13, v6                                  // coord1
v_mul_lo_u32 v13, v13, s[sgprStrideD1J]            // coord1 offset =  coord1 * StrideD
_v_add_lshl_u32 v13, v13, v4, 0x2                  // global write D address
s_waitcnt lgkmcnt(3)                               // wait for LDS read
_buffer_store_b128 v[16:19], v13, s[sgprSrdD:sgprSrdD+3], 0, offen, offset:0 // store D
_v_add_u32 v13, v6, 2                              // coord1 += nColPerLoad
v_mul_lo_u32 v13, v13, s[sgprStrideD1J]            // coord1 offset =  coord1 * StrideD
_v_add_lshl_u32 v13, v13, v4, 0x2                  // global write D address
s_waitcnt lgkmcnt(2)                               // wait for LDS read
_buffer_store_b128 v[20:23], v13, s[sgprSrdD:sgprSrdD+3], 0, offen, offset:0 // store D
_v_add_u32 v13, v6, 4                              // coord1 += nColPerLoad
	;; [unrolled: 5-line block ×3, first 2 shown]
v_mul_lo_u32 v13, v13, s[sgprStrideD1J]            // coord1 offset =  coord1 * StrideD
_v_add_lshl_u32 v13, v13, v4, 0x2                  // global write D address
s_waitcnt lgkmcnt(0)                               // wait for LDS read
_buffer_store_b128 v[28:31], v13, s[sgprSrdD:sgprSrdD+3], 0, offen, offset:0 // store D

s_barrier //wait all lds read finished
s_nop 0                                            // 1 wait state required when next inst writes vgprs held by previous dwordx4 store inst
s_branch label_GW_End_90                           // jump to end
GW_B1_E1_89:

/* edge=1, allocate 6 sgpr. perBatchTmpS=4 perBatchMaskS=2 perElementMaskS=0 elementsPerBatch=4 */
/* optSingleColVgpr=0 optSharedColVgpr=0 optSGPRUsage=BufferLoad_Edge_Mask optSrdIncForRow=1 */

/******************************************/
/* Global Write Alpha Beta Edge Batch #0 (d1,d0,vc1,vc0) = */
/*    (0,0,0,0:vw1); (0,0,0,1:vw1); (0,0,0,2:vw1); (0,0,0,3:vw1) */
/******************************************/

/* calc coords, apply mask, and issue loads (if necessary) */
/* (d1,vc1,d0,vc0)=(0,0,0,0) */
v_cmp_lt_u32 s[54:55], v0, s[sgprSizeI]            // coord0 < size0
v_cmp_lt_u32 s[58:59], v1, s[sgprSizeJ]            // coord1 < size1
s_and_b64 s[58:59], s[54:55], s[58:59]             // in0 && in1
_v_add_lshl_u32 v9, v2, v0, 0x2                    // scaleToBpe: accumulate d0 lower and *= bpe into Cin addr
v_cndmask_b32 v9, -1, v9, s[58:59]                 // LDC clip if OOB. offset
_buffer_load_b32 v12, v9, s[sgprSrdC:sgprSrdC+3], 0, offen offset:0 // load C for beta calc
_v_add_lshl_u32 v9, v3, v0, 0x2                    // scaleToBpe: accumulate d0 lower and *= bpe into Cin addr
v_cndmask_b32 v9, -1, v9, s[58:59]                 // LDD clip if OOB. offset
/* (d1,vc1,d0,vc0)=(0,0,0,1) */
_v_add_co_u32 v10, vcc, v0, 1                      // coord0.1: coord0 += d0*sg0*VW + vc0
v_cmp_lt_u32 s[54:55], v10, s[sgprSizeI]           // coord0 < size0
v_cmp_lt_u32 s[58:59], v1, s[sgprSizeJ]            // coord1 < size1
s_and_b64 s[58:59], s[54:55], s[58:59]             // in0 && in1
_v_add_lshl_u32 v14, v2, v10, 0x2                  // scaleToBpe: accumulate d0 lower and *= bpe into Cin addr
v_cndmask_b32 v14, -1, v14, s[58:59]               // LDC clip if OOB. offset
_buffer_load_b32 v15, v14, s[sgprSrdC:sgprSrdC+3], 0, offen offset:0 // load C for beta calc
_v_add_lshl_u32 v14, v3, v10, 0x2                  // scaleToBpe: accumulate d0 lower and *= bpe into Cin addr
v_cndmask_b32 v14, -1, v14, s[58:59]               // LDD clip if OOB. offset
/* (d1,vc1,d0,vc0)=(0,0,0,2) */
_v_add_co_u32 v10, vcc, v0, 2                      // coord0.1: coord0 += d0*sg0*VW + vc0
v_cmp_lt_u32 s[54:55], v10, s[sgprSizeI]           // coord0 < size0
v_cmp_lt_u32 s[58:59], v1, s[sgprSizeJ]            // coord1 < size1
s_and_b64 s[58:59], s[54:55], s[58:59]             // in0 && in1
_v_add_lshl_u32 v17, v2, v10, 0x2                  // scaleToBpe: accumulate d0 lower and *= bpe into Cin addr
v_cndmask_b32 v17, -1, v17, s[58:59]               // LDC clip if OOB. offset
_buffer_load_b32 v18, v17, s[sgprSrdC:sgprSrdC+3], 0, offen offset:0 // load C for beta calc
_v_add_lshl_u32 v17, v3, v10, 0x2                  // scaleToBpe: accumulate d0 lower and *= bpe into Cin addr
v_cndmask_b32 v17, -1, v17, s[58:59]               // LDD clip if OOB. offset
/* (d1,vc1,d0,vc0)=(0,0,0,3) */
_v_add_co_u32 v10, vcc, v0, 3                      // coord0.1: coord0 += d0*sg0*VW + vc0
v_cmp_lt_u32 s[54:55], v10, s[sgprSizeI]           // coord0 < size0
v_cmp_lt_u32 s[58:59], v1, s[sgprSizeJ]            // coord1 < size1
s_and_b64 s[58:59], s[54:55], s[58:59]             // in0 && in1
_v_add_lshl_u32 v20, v2, v10, 0x2                  // scaleToBpe: accumulate d0 lower and *= bpe into Cin addr
v_cndmask_b32 v20, -1, v20, s[58:59]               // LDC clip if OOB. offset
_buffer_load_b32 v21, v20, s[sgprSrdC:sgprSrdC+3], 0, offen offset:0 // load C for beta calc
_v_add_lshl_u32 v20, v3, v10, 0x2                  // scaleToBpe: accumulate d0 lower and *= bpe into Cin addr
v_cndmask_b32 v20, -1, v20, s[58:59]               // LDD clip if OOB. offset
v_accvgpr_read_b32 v[vgprValuC+13], acc0 // copy acc to vreg[0]
v_accvgpr_read_b32 v[vgprValuC+16], acc1 // copy acc to vreg[1]
v_accvgpr_read_b32 v[vgprValuC+19], acc2 // copy acc to vreg[2]
v_accvgpr_read_b32 v[vgprValuC+22], acc3 // copy acc to vreg[3]
s_nop 1                                            // 2 wait states required before reading vgpr

/* rC *= alpha batchElements=[(0, 0, 0, 0), (0, 0, 0, 1), (0, 0, 0, 2), (0, 0, 0, 3)] */
v_mul_lo_u32 v[vgprValuC+13], s[sgprAlpha], v[vgprValuC+13] // *= alpha
v_mul_lo_u32 v[vgprValuC+16], s[sgprAlpha], v[vgprValuC+16] // *= alpha
	;; [unrolled: 1-line block ×4, first 2 shown]
s_waitcnt vmcnt(0)                                 // wait C

/* apply mask, calc new C and issue writes */
v_mul_lo_u32 v12, s[sgprBeta], v12                 // C = C*beta
_v_add_u32 v[vgprValuC+13], v12, v[vgprValuC+13]   // finalSum = sum*alpha + C*beta
_ds_store_b32 v7, v13, offset:0                    // storeRemap lw
v_mul_lo_u32 v15, s[sgprBeta], v15                 // C = C*beta
_v_add_u32 v[vgprValuC+16], v15, v[vgprValuC+16]   // finalSum = sum*alpha + C*beta
_ds_store_b32 v7, v16, offset:4                    // storeRemap lw
	;; [unrolled: 3-line block ×3, first 2 shown]
v_mul_lo_u32 v21, s[sgprBeta], v21                 // C = C*beta
_v_add_u32 v[vgprValuC+22], v21, v[vgprValuC+22]   // finalSum = sum*alpha + C*beta
_ds_store_b32 v7, v22, offset:12                   // storeRemap lw
s_nop 0                                            // 1 wait state required when next inst writes vgprs held by previous dwordx4 store inst
/* optSingleColVgpr=0 optSharedColVgpr=0 optSGPRUsage=BufferLoad_Edge_Mask optSrdIncForRow=1 */

/******************************************/
/* Global Write Alpha Beta Edge Batch #1 (d1,d0,vc1,vc0) = */
/*    (0,1,0,0:vw1); (0,1,0,1:vw1); (0,1,0,2:vw1); (0,1,0,3:vw1) */
/******************************************/

/* calc coords, apply mask, and issue loads (if necessary) */
/* (d1,vc1,d0,vc0)=(0,0,1,0) */
_v_add_co_u32 v10, vcc, v0, 8                      // coord0.1: coord0 += d0*sg0*VW + vc0
v_cmp_lt_u32 s[54:55], v10, s[sgprSizeI]           // coord0 < size0
v_cmp_lt_u32 s[58:59], v1, s[sgprSizeJ]            // coord1 < size1
s_and_b64 s[58:59], s[54:55], s[58:59]             // in0 && in1
_v_add_lshl_u32 v9, v2, v10, 0x2                   // scaleToBpe: accumulate d0 lower and *= bpe into Cin addr
v_cndmask_b32 v9, -1, v9, s[58:59]                 // LDC clip if OOB. offset
_buffer_load_b32 v12, v9, s[sgprSrdC:sgprSrdC+3], 0, offen offset:0 // load C for beta calc
_v_add_lshl_u32 v9, v3, v10, 0x2                   // scaleToBpe: accumulate d0 lower and *= bpe into Cin addr
v_cndmask_b32 v9, -1, v9, s[58:59]                 // LDD clip if OOB. offset
/* (d1,vc1,d0,vc0)=(0,0,1,1) */
_v_add_co_u32 v10, vcc, v0, 9                      // coord0.1: coord0 += d0*sg0*VW + vc0
v_cmp_lt_u32 s[54:55], v10, s[sgprSizeI]           // coord0 < size0
v_cmp_lt_u32 s[58:59], v1, s[sgprSizeJ]            // coord1 < size1
s_and_b64 s[58:59], s[54:55], s[58:59]             // in0 && in1
_v_add_lshl_u32 v14, v2, v10, 0x2                  // scaleToBpe: accumulate d0 lower and *= bpe into Cin addr
v_cndmask_b32 v14, -1, v14, s[58:59]               // LDC clip if OOB. offset
_buffer_load_b32 v15, v14, s[sgprSrdC:sgprSrdC+3], 0, offen offset:0 // load C for beta calc
_v_add_lshl_u32 v14, v3, v10, 0x2                  // scaleToBpe: accumulate d0 lower and *= bpe into Cin addr
v_cndmask_b32 v14, -1, v14, s[58:59]               // LDD clip if OOB. offset
/* (d1,vc1,d0,vc0)=(0,0,1,2) */
_v_add_co_u32 v10, vcc, v0, 10                     // coord0.1: coord0 += d0*sg0*VW + vc0
v_cmp_lt_u32 s[54:55], v10, s[sgprSizeI]           // coord0 < size0
v_cmp_lt_u32 s[58:59], v1, s[sgprSizeJ]            // coord1 < size1
s_and_b64 s[58:59], s[54:55], s[58:59]             // in0 && in1
_v_add_lshl_u32 v17, v2, v10, 0x2                  // scaleToBpe: accumulate d0 lower and *= bpe into Cin addr
v_cndmask_b32 v17, -1, v17, s[58:59]               // LDC clip if OOB. offset
_buffer_load_b32 v18, v17, s[sgprSrdC:sgprSrdC+3], 0, offen offset:0 // load C for beta calc
_v_add_lshl_u32 v17, v3, v10, 0x2                  // scaleToBpe: accumulate d0 lower and *= bpe into Cin addr
v_cndmask_b32 v17, -1, v17, s[58:59]               // LDD clip if OOB. offset
/* (d1,vc1,d0,vc0)=(0,0,1,3) */
_v_add_co_u32 v10, vcc, v0, 11                     // coord0.1: coord0 += d0*sg0*VW + vc0
v_cmp_lt_u32 s[54:55], v10, s[sgprSizeI]           // coord0 < size0
v_cmp_lt_u32 s[58:59], v1, s[sgprSizeJ]            // coord1 < size1
s_and_b64 s[58:59], s[54:55], s[58:59]             // in0 && in1
_v_add_lshl_u32 v20, v2, v10, 0x2                  // scaleToBpe: accumulate d0 lower and *= bpe into Cin addr
v_cndmask_b32 v20, -1, v20, s[58:59]               // LDC clip if OOB. offset
_buffer_load_b32 v21, v20, s[sgprSrdC:sgprSrdC+3], 0, offen offset:0 // load C for beta calc
_v_add_lshl_u32 v20, v3, v10, 0x2                  // scaleToBpe: accumulate d0 lower and *= bpe into Cin addr
v_cndmask_b32 v20, -1, v20, s[58:59]               // LDD clip if OOB. offset
v_accvgpr_read_b32 v[vgprValuC+13], acc4 // copy acc to vreg[4]
v_accvgpr_read_b32 v[vgprValuC+16], acc5 // copy acc to vreg[5]
v_accvgpr_read_b32 v[vgprValuC+19], acc6 // copy acc to vreg[6]
v_accvgpr_read_b32 v[vgprValuC+22], acc7 // copy acc to vreg[7]
s_nop 1                                            // 2 wait states required before reading vgpr

/* rC *= alpha batchElements=[(0, 1, 0, 0), (0, 1, 0, 1), (0, 1, 0, 2), (0, 1, 0, 3)] */
v_mul_lo_u32 v[vgprValuC+13], s[sgprAlpha], v[vgprValuC+13] // *= alpha
v_mul_lo_u32 v[vgprValuC+16], s[sgprAlpha], v[vgprValuC+16] // *= alpha
	;; [unrolled: 1-line block ×4, first 2 shown]
s_waitcnt vmcnt(0)                                 // wait C

/* apply mask, calc new C and issue writes */
v_mul_lo_u32 v12, s[sgprBeta], v12                 // C = C*beta
_v_add_u32 v[vgprValuC+13], v12, v[vgprValuC+13]   // finalSum = sum*alpha + C*beta
_ds_store_b32 v7, v13, offset:32                   // storeRemap lw
v_mul_lo_u32 v15, s[sgprBeta], v15                 // C = C*beta
_v_add_u32 v[vgprValuC+16], v15, v[vgprValuC+16]   // finalSum = sum*alpha + C*beta
_ds_store_b32 v7, v16, offset:36                   // storeRemap lw
	;; [unrolled: 3-line block ×4, first 2 shown]
s_nop 0                                            // 1 wait state required when next inst writes vgprs held by previous dwordx4 store inst
/* optSingleColVgpr=0 optSharedColVgpr=0 optSGPRUsage=BufferLoad_Edge_Mask optSrdIncForRow=1 */

/******************************************/
/* Global Write Alpha Beta Edge Batch #2 (d1,d0,vc1,vc0) = */
/*    (0,2,0,0:vw1); (0,2,0,1:vw1); (0,2,0,2:vw1); (0,2,0,3:vw1) */
/******************************************/

/* calc coords, apply mask, and issue loads (if necessary) */
/* (d1,vc1,d0,vc0)=(0,0,2,0) */
_v_add_co_u32 v10, vcc, v0, 16                     // coord0.1: coord0 += d0*sg0*VW + vc0
v_cmp_lt_u32 s[54:55], v10, s[sgprSizeI]           // coord0 < size0
v_cmp_lt_u32 s[58:59], v1, s[sgprSizeJ]            // coord1 < size1
s_and_b64 s[58:59], s[54:55], s[58:59]             // in0 && in1
_v_add_lshl_u32 v9, v2, v10, 0x2                   // scaleToBpe: accumulate d0 lower and *= bpe into Cin addr
v_cndmask_b32 v9, -1, v9, s[58:59]                 // LDC clip if OOB. offset
_buffer_load_b32 v12, v9, s[sgprSrdC:sgprSrdC+3], 0, offen offset:0 // load C for beta calc
_v_add_lshl_u32 v9, v3, v10, 0x2                   // scaleToBpe: accumulate d0 lower and *= bpe into Cin addr
v_cndmask_b32 v9, -1, v9, s[58:59]                 // LDD clip if OOB. offset
/* (d1,vc1,d0,vc0)=(0,0,2,1) */
_v_add_co_u32 v10, vcc, v0, 17                     // coord0.1: coord0 += d0*sg0*VW + vc0
v_cmp_lt_u32 s[54:55], v10, s[sgprSizeI]           // coord0 < size0
v_cmp_lt_u32 s[58:59], v1, s[sgprSizeJ]            // coord1 < size1
s_and_b64 s[58:59], s[54:55], s[58:59]             // in0 && in1
_v_add_lshl_u32 v14, v2, v10, 0x2                  // scaleToBpe: accumulate d0 lower and *= bpe into Cin addr
v_cndmask_b32 v14, -1, v14, s[58:59]               // LDC clip if OOB. offset
_buffer_load_b32 v15, v14, s[sgprSrdC:sgprSrdC+3], 0, offen offset:0 // load C for beta calc
_v_add_lshl_u32 v14, v3, v10, 0x2                  // scaleToBpe: accumulate d0 lower and *= bpe into Cin addr
v_cndmask_b32 v14, -1, v14, s[58:59]               // LDD clip if OOB. offset
/* (d1,vc1,d0,vc0)=(0,0,2,2) */
_v_add_co_u32 v10, vcc, v0, 18                     // coord0.1: coord0 += d0*sg0*VW + vc0
v_cmp_lt_u32 s[54:55], v10, s[sgprSizeI]           // coord0 < size0
v_cmp_lt_u32 s[58:59], v1, s[sgprSizeJ]            // coord1 < size1
s_and_b64 s[58:59], s[54:55], s[58:59]             // in0 && in1
_v_add_lshl_u32 v17, v2, v10, 0x2                  // scaleToBpe: accumulate d0 lower and *= bpe into Cin addr
v_cndmask_b32 v17, -1, v17, s[58:59]               // LDC clip if OOB. offset
_buffer_load_b32 v18, v17, s[sgprSrdC:sgprSrdC+3], 0, offen offset:0 // load C for beta calc
_v_add_lshl_u32 v17, v3, v10, 0x2                  // scaleToBpe: accumulate d0 lower and *= bpe into Cin addr
v_cndmask_b32 v17, -1, v17, s[58:59]               // LDD clip if OOB. offset
	;; [unrolled: 10-line block ×3, first 2 shown]
v_accvgpr_read_b32 v[vgprValuC+13], acc8 // copy acc to vreg[8]
v_accvgpr_read_b32 v[vgprValuC+16], acc9 // copy acc to vreg[9]
v_accvgpr_read_b32 v[vgprValuC+19], acc10 // copy acc to vreg[10]
v_accvgpr_read_b32 v[vgprValuC+22], acc11 // copy acc to vreg[11]
s_nop 1                                            // 2 wait states required before reading vgpr

/* rC *= alpha batchElements=[(0, 2, 0, 0), (0, 2, 0, 1), (0, 2, 0, 2), (0, 2, 0, 3)] */
v_mul_lo_u32 v[vgprValuC+13], s[sgprAlpha], v[vgprValuC+13] // *= alpha
v_mul_lo_u32 v[vgprValuC+16], s[sgprAlpha], v[vgprValuC+16] // *= alpha
	;; [unrolled: 1-line block ×4, first 2 shown]
s_waitcnt vmcnt(0)                                 // wait C

/* apply mask, calc new C and issue writes */
v_mul_lo_u32 v12, s[sgprBeta], v12                 // C = C*beta
_v_add_u32 v[vgprValuC+13], v12, v[vgprValuC+13]   // finalSum = sum*alpha + C*beta
_ds_store_b32 v7, v13, offset:64                   // storeRemap lw
v_mul_lo_u32 v15, s[sgprBeta], v15                 // C = C*beta
_v_add_u32 v[vgprValuC+16], v15, v[vgprValuC+16]   // finalSum = sum*alpha + C*beta
_ds_store_b32 v7, v16, offset:68                   // storeRemap lw
	;; [unrolled: 3-line block ×4, first 2 shown]
s_nop 0                                            // 1 wait state required when next inst writes vgprs held by previous dwordx4 store inst
/* optSingleColVgpr=0 optSharedColVgpr=0 optSGPRUsage=BufferLoad_Edge_Mask optSrdIncForRow=1 */

/******************************************/
/* Global Write Alpha Beta Edge Batch #3 (d1,d0,vc1,vc0) = */
/*    (0,3,0,0:vw1); (0,3,0,1:vw1); (0,3,0,2:vw1); (0,3,0,3:vw1) */
/******************************************/

/* calc coords, apply mask, and issue loads (if necessary) */
/* (d1,vc1,d0,vc0)=(0,0,3,0) */
_v_add_co_u32 v10, vcc, v0, 24                     // coord0.1: coord0 += d0*sg0*VW + vc0
v_cmp_lt_u32 s[54:55], v10, s[sgprSizeI]           // coord0 < size0
v_cmp_lt_u32 s[58:59], v1, s[sgprSizeJ]            // coord1 < size1
s_and_b64 s[58:59], s[54:55], s[58:59]             // in0 && in1
_v_add_lshl_u32 v9, v2, v10, 0x2                   // scaleToBpe: accumulate d0 lower and *= bpe into Cin addr
v_cndmask_b32 v9, -1, v9, s[58:59]                 // LDC clip if OOB. offset
_buffer_load_b32 v12, v9, s[sgprSrdC:sgprSrdC+3], 0, offen offset:0 // load C for beta calc
_v_add_lshl_u32 v9, v3, v10, 0x2                   // scaleToBpe: accumulate d0 lower and *= bpe into Cin addr
v_cndmask_b32 v9, -1, v9, s[58:59]                 // LDD clip if OOB. offset
/* (d1,vc1,d0,vc0)=(0,0,3,1) */
_v_add_co_u32 v10, vcc, v0, 25                     // coord0.1: coord0 += d0*sg0*VW + vc0
v_cmp_lt_u32 s[54:55], v10, s[sgprSizeI]           // coord0 < size0
v_cmp_lt_u32 s[58:59], v1, s[sgprSizeJ]            // coord1 < size1
s_and_b64 s[58:59], s[54:55], s[58:59]             // in0 && in1
_v_add_lshl_u32 v14, v2, v10, 0x2                  // scaleToBpe: accumulate d0 lower and *= bpe into Cin addr
v_cndmask_b32 v14, -1, v14, s[58:59]               // LDC clip if OOB. offset
_buffer_load_b32 v15, v14, s[sgprSrdC:sgprSrdC+3], 0, offen offset:0 // load C for beta calc
_v_add_lshl_u32 v14, v3, v10, 0x2                  // scaleToBpe: accumulate d0 lower and *= bpe into Cin addr
v_cndmask_b32 v14, -1, v14, s[58:59]               // LDD clip if OOB. offset
/* (d1,vc1,d0,vc0)=(0,0,3,2) */
_v_add_co_u32 v10, vcc, v0, 26                     // coord0.1: coord0 += d0*sg0*VW + vc0
v_cmp_lt_u32 s[54:55], v10, s[sgprSizeI]           // coord0 < size0
v_cmp_lt_u32 s[58:59], v1, s[sgprSizeJ]            // coord1 < size1
s_and_b64 s[58:59], s[54:55], s[58:59]             // in0 && in1
_v_add_lshl_u32 v17, v2, v10, 0x2                  // scaleToBpe: accumulate d0 lower and *= bpe into Cin addr
v_cndmask_b32 v17, -1, v17, s[58:59]               // LDC clip if OOB. offset
_buffer_load_b32 v18, v17, s[sgprSrdC:sgprSrdC+3], 0, offen offset:0 // load C for beta calc
_v_add_lshl_u32 v17, v3, v10, 0x2                  // scaleToBpe: accumulate d0 lower and *= bpe into Cin addr
v_cndmask_b32 v17, -1, v17, s[58:59]               // LDD clip if OOB. offset
	;; [unrolled: 10-line block ×3, first 2 shown]
v_accvgpr_read_b32 v[vgprValuC+13], acc12 // copy acc to vreg[12]
v_accvgpr_read_b32 v[vgprValuC+16], acc13 // copy acc to vreg[13]
v_accvgpr_read_b32 v[vgprValuC+19], acc14 // copy acc to vreg[14]
v_accvgpr_read_b32 v[vgprValuC+22], acc15 // copy acc to vreg[15]
s_nop 1                                            // 2 wait states required before reading vgpr

/* rC *= alpha batchElements=[(0, 3, 0, 0), (0, 3, 0, 1), (0, 3, 0, 2), (0, 3, 0, 3)] */
v_mul_lo_u32 v[vgprValuC+13], s[sgprAlpha], v[vgprValuC+13] // *= alpha
v_mul_lo_u32 v[vgprValuC+16], s[sgprAlpha], v[vgprValuC+16] // *= alpha
	;; [unrolled: 1-line block ×4, first 2 shown]
s_waitcnt vmcnt(0)                                 // wait C

/* apply mask, calc new C and issue writes */
v_mul_lo_u32 v12, s[sgprBeta], v12                 // C = C*beta
_v_add_u32 v[vgprValuC+13], v12, v[vgprValuC+13]   // finalSum = sum*alpha + C*beta
_ds_store_b32 v7, v13, offset:96                   // storeRemap lw
v_mul_lo_u32 v15, s[sgprBeta], v15                 // C = C*beta
_v_add_u32 v[vgprValuC+16], v15, v[vgprValuC+16]   // finalSum = sum*alpha + C*beta
_ds_store_b32 v7, v16, offset:100                  // storeRemap lw
v_mul_lo_u32 v18, s[sgprBeta], v18                 // C = C*beta
_v_add_u32 v[vgprValuC+19], v18, v[vgprValuC+19]   // finalSum = sum*alpha + C*beta
_ds_store_b32 v7, v19, offset:104                  // storeRemap lw
	;; [unrolled: 3-line block ×3, first 2 shown]

/* Handle local read and global write */
s_waitcnt lgkmcnt(0)                               // wait for LDS write
s_barrier //wait all lds write finished

_ds_load_b128 v[12:15], v8, offset:0               // storeRemap lr
_ds_load_b128 v[16:19], v8, offset:1056            // storeRemap lr
_ds_load_b128 v[20:23], v8, offset:2112            // storeRemap lr
	;; [unrolled: 1-line block ×3, first 2 shown]

s_waitcnt lgkmcnt(3)                               // wait for LDS read
_v_add_u32 v11, v5, 0                              // coord1 += nColPerLoad
_v_add_u32 v10, v4, 0                              // coord0 += element index of load vector
_v_add_u32 v9, v6, 0                               // offset coord1 += nColPerLoad
v_cmp_lt_u32 s[54:55], v10, s[sgprSizeI]           // coord0 < size0
v_cmp_lt_u32 s[56:57], v11, s[sgprSizeJ]           // coord1 < size1
s_and_b64 s[56:57], s[54:55], s[56:57]             // in0 && in1
v_mul_lo_u32 v9, v9, s[sgprStrideD1J]              // coord1 element offset =  coord1 * StrideD
_v_add_lshl_u32 v9, v9, v10, 0x2                   // scale to BPE
v_cndmask_b32 v9, -1, v9, s[56:57]                 // clip if OOB. offset
_buffer_store_b32 v12, v9, s[sgprSrdD:sgprSrdD+3], 0, offen, offset:0 // store D
_v_add_u32 v11, v5, 0                              // coord1 += nColPerLoad
_v_add_u32 v10, v4, 1                              // coord0 += element index of load vector
_v_add_u32 v9, v6, 0                               // offset coord1 += nColPerLoad
v_cmp_lt_u32 s[54:55], v10, s[sgprSizeI]           // coord0 < size0
v_cmp_lt_u32 s[56:57], v11, s[sgprSizeJ]           // coord1 < size1
s_and_b64 s[56:57], s[54:55], s[56:57]             // in0 && in1
v_mul_lo_u32 v9, v9, s[sgprStrideD1J]              // coord1 element offset =  coord1 * StrideD
_v_add_lshl_u32 v9, v9, v10, 0x2                   // scale to BPE
v_cndmask_b32 v9, -1, v9, s[56:57]                 // clip if OOB. offset
_buffer_store_b32 v13, v9, s[sgprSrdD:sgprSrdD+3], 0, offen, offset:0 // store D
_v_add_u32 v11, v5, 0                              // coord1 += nColPerLoad
_v_add_u32 v10, v4, 2                              // coord0 += element index of load vector
_v_add_u32 v9, v6, 0                               // offset coord1 += nColPerLoad
v_cmp_lt_u32 s[54:55], v10, s[sgprSizeI]           // coord0 < size0
v_cmp_lt_u32 s[56:57], v11, s[sgprSizeJ]           // coord1 < size1
s_and_b64 s[56:57], s[54:55], s[56:57]             // in0 && in1
v_mul_lo_u32 v9, v9, s[sgprStrideD1J]              // coord1 element offset =  coord1 * StrideD
_v_add_lshl_u32 v9, v9, v10, 0x2                   // scale to BPE
v_cndmask_b32 v9, -1, v9, s[56:57]                 // clip if OOB. offset
_buffer_store_b32 v14, v9, s[sgprSrdD:sgprSrdD+3], 0, offen, offset:0 // store D
_v_add_u32 v11, v5, 0                              // coord1 += nColPerLoad
_v_add_u32 v10, v4, 3                              // coord0 += element index of load vector
_v_add_u32 v9, v6, 0                               // offset coord1 += nColPerLoad
v_cmp_lt_u32 s[54:55], v10, s[sgprSizeI]           // coord0 < size0
v_cmp_lt_u32 s[56:57], v11, s[sgprSizeJ]           // coord1 < size1
s_and_b64 s[56:57], s[54:55], s[56:57]             // in0 && in1
v_mul_lo_u32 v9, v9, s[sgprStrideD1J]              // coord1 element offset =  coord1 * StrideD
_v_add_lshl_u32 v9, v9, v10, 0x2                   // scale to BPE
v_cndmask_b32 v9, -1, v9, s[56:57]                 // clip if OOB. offset
_buffer_store_b32 v15, v9, s[sgprSrdD:sgprSrdD+3], 0, offen, offset:0 // store D
s_waitcnt lgkmcnt(2)                               // wait for LDS read
_v_add_u32 v11, v5, 2                              // coord1 += nColPerLoad
_v_add_u32 v10, v4, 0                              // coord0 += element index of load vector
_v_add_u32 v9, v6, 2                               // offset coord1 += nColPerLoad
v_cmp_lt_u32 s[54:55], v10, s[sgprSizeI]           // coord0 < size0
v_cmp_lt_u32 s[56:57], v11, s[sgprSizeJ]           // coord1 < size1
s_and_b64 s[56:57], s[54:55], s[56:57]             // in0 && in1
v_mul_lo_u32 v9, v9, s[sgprStrideD1J]              // coord1 element offset =  coord1 * StrideD
_v_add_lshl_u32 v9, v9, v10, 0x2                   // scale to BPE
v_cndmask_b32 v9, -1, v9, s[56:57]                 // clip if OOB. offset
_buffer_store_b32 v16, v9, s[sgprSrdD:sgprSrdD+3], 0, offen, offset:0 // store D
_v_add_u32 v11, v5, 2                              // coord1 += nColPerLoad
_v_add_u32 v10, v4, 1                              // coord0 += element index of load vector
_v_add_u32 v9, v6, 2                               // offset coord1 += nColPerLoad
v_cmp_lt_u32 s[54:55], v10, s[sgprSizeI]           // coord0 < size0
v_cmp_lt_u32 s[56:57], v11, s[sgprSizeJ]           // coord1 < size1
s_and_b64 s[56:57], s[54:55], s[56:57]             // in0 && in1
v_mul_lo_u32 v9, v9, s[sgprStrideD1J]              // coord1 element offset =  coord1 * StrideD
_v_add_lshl_u32 v9, v9, v10, 0x2                   // scale to BPE
v_cndmask_b32 v9, -1, v9, s[56:57]                 // clip if OOB. offset
_buffer_store_b32 v17, v9, s[sgprSrdD:sgprSrdD+3], 0, offen, offset:0 // store D
_v_add_u32 v11, v5, 2                              // coord1 += nColPerLoad
_v_add_u32 v10, v4, 2                              // coord0 += element index of load vector
_v_add_u32 v9, v6, 2                               // offset coord1 += nColPerLoad
v_cmp_lt_u32 s[54:55], v10, s[sgprSizeI]           // coord0 < size0
v_cmp_lt_u32 s[56:57], v11, s[sgprSizeJ]           // coord1 < size1
s_and_b64 s[56:57], s[54:55], s[56:57]             // in0 && in1
v_mul_lo_u32 v9, v9, s[sgprStrideD1J]              // coord1 element offset =  coord1 * StrideD
_v_add_lshl_u32 v9, v9, v10, 0x2                   // scale to BPE
v_cndmask_b32 v9, -1, v9, s[56:57]                 // clip if OOB. offset
_buffer_store_b32 v18, v9, s[sgprSrdD:sgprSrdD+3], 0, offen, offset:0 // store D
_v_add_u32 v11, v5, 2                              // coord1 += nColPerLoad
_v_add_u32 v10, v4, 3                              // coord0 += element index of load vector
_v_add_u32 v9, v6, 2                               // offset coord1 += nColPerLoad
v_cmp_lt_u32 s[54:55], v10, s[sgprSizeI]           // coord0 < size0
v_cmp_lt_u32 s[56:57], v11, s[sgprSizeJ]           // coord1 < size1
s_and_b64 s[56:57], s[54:55], s[56:57]             // in0 && in1
v_mul_lo_u32 v9, v9, s[sgprStrideD1J]              // coord1 element offset =  coord1 * StrideD
_v_add_lshl_u32 v9, v9, v10, 0x2                   // scale to BPE
v_cndmask_b32 v9, -1, v9, s[56:57]                 // clip if OOB. offset
_buffer_store_b32 v19, v9, s[sgprSrdD:sgprSrdD+3], 0, offen, offset:0 // store D
	;; [unrolled: 41-line block ×4, first 2 shown]

s_barrier //wait all lds read finished
s_nop 0                                            // 1 wait state required when next inst writes vgprs held by previous dwordx4 store inst
/* optSingleColVgpr=0 optSharedColVgpr=0 optSGPRUsage=BufferLoad_Edge_Mask optSrdIncForRow=1 */

/******************************************/
/* Global Write Alpha Beta Edge Batch #4 (d1,d0,vc1,vc0) = */
/*    (1,0,0,0:vw1); (1,0,0,1:vw1); (1,0,0,2:vw1); (1,0,0,3:vw1) */
/******************************************/

/* calc coords, apply mask, and issue loads (if necessary) */
/* (d1,vc1,d0,vc0)=(1,0,0,0) */
_v_add_co_u32 v1, vcc, v1, 32                      // coord1.1: coord1Vgpr += d1*sg1*VW + vc1
v_cmp_lt_u32 s[54:55], v0, s[sgprSizeI]            // coord0 < size0
v_cmp_lt_u32 s[58:59], v1, s[sgprSizeJ]            // coord1 < size1
s_and_b64 s[58:59], s[54:55], s[58:59]             // in0 && in1
_v_add_lshl_u32 v9, v2, v0, 0x2                    // scaleToBpe: accumulate d0 lower and *= bpe into Cin addr
v_cndmask_b32 v9, -1, v9, s[58:59]                 // LDC clip if OOB. offset
s_mul_i32 s54, s[sgprStrideC1J], 128               // scale StrideC *= numRows(32) * bpe
s_add_u32  s[sgprSrdC+0], s[sgprSrdC+0], s54       // incToNextRow: gra SRD += inc(lower)
s_addc_u32  s[sgprSrdC+1], s[sgprSrdC+1], 0        // incToNextRow: gra SRD += inc(upper)
_buffer_load_b32 v12, v9, s[sgprSrdC:sgprSrdC+3], 0, offen offset:0 // load C for beta calc
_v_add_lshl_u32 v9, v3, v0, 0x2                    // scaleToBpe: accumulate d0 lower and *= bpe into Cin addr
v_cndmask_b32 v9, -1, v9, s[58:59]                 // LDD clip if OOB. offset
/* (d1,vc1,d0,vc0)=(1,0,0,1) */
_v_add_co_u32 v10, vcc, v0, 1                      // coord0.1: coord0 += d0*sg0*VW + vc0
v_cmp_lt_u32 s[54:55], v10, s[sgprSizeI]           // coord0 < size0
v_cmp_lt_u32 s[58:59], v1, s[sgprSizeJ]            // coord1 < size1
s_and_b64 s[58:59], s[54:55], s[58:59]             // in0 && in1
_v_add_lshl_u32 v14, v2, v10, 0x2                  // scaleToBpe: accumulate d0 lower and *= bpe into Cin addr
v_cndmask_b32 v14, -1, v14, s[58:59]               // LDC clip if OOB. offset
_buffer_load_b32 v15, v14, s[sgprSrdC:sgprSrdC+3], 0, offen offset:0 // load C for beta calc
_v_add_lshl_u32 v14, v3, v10, 0x2                  // scaleToBpe: accumulate d0 lower and *= bpe into Cin addr
v_cndmask_b32 v14, -1, v14, s[58:59]               // LDD clip if OOB. offset
/* (d1,vc1,d0,vc0)=(1,0,0,2) */
_v_add_co_u32 v10, vcc, v0, 2                      // coord0.1: coord0 += d0*sg0*VW + vc0
v_cmp_lt_u32 s[54:55], v10, s[sgprSizeI]           // coord0 < size0
v_cmp_lt_u32 s[58:59], v1, s[sgprSizeJ]            // coord1 < size1
s_and_b64 s[58:59], s[54:55], s[58:59]             // in0 && in1
_v_add_lshl_u32 v17, v2, v10, 0x2                  // scaleToBpe: accumulate d0 lower and *= bpe into Cin addr
v_cndmask_b32 v17, -1, v17, s[58:59]               // LDC clip if OOB. offset
_buffer_load_b32 v18, v17, s[sgprSrdC:sgprSrdC+3], 0, offen offset:0 // load C for beta calc
_v_add_lshl_u32 v17, v3, v10, 0x2                  // scaleToBpe: accumulate d0 lower and *= bpe into Cin addr
v_cndmask_b32 v17, -1, v17, s[58:59]               // LDD clip if OOB. offset
	;; [unrolled: 10-line block ×3, first 2 shown]
v_accvgpr_read_b32 v[vgprValuC+13], acc16 // copy acc to vreg[16]
v_accvgpr_read_b32 v[vgprValuC+16], acc17 // copy acc to vreg[17]
v_accvgpr_read_b32 v[vgprValuC+19], acc18 // copy acc to vreg[18]
v_accvgpr_read_b32 v[vgprValuC+22], acc19 // copy acc to vreg[19]
s_nop 1                                            // 2 wait states required before reading vgpr

/* rC *= alpha batchElements=[(1, 0, 0, 0), (1, 0, 0, 1), (1, 0, 0, 2), (1, 0, 0, 3)] */
v_mul_lo_u32 v[vgprValuC+13], s[sgprAlpha], v[vgprValuC+13] // *= alpha
v_mul_lo_u32 v[vgprValuC+16], s[sgprAlpha], v[vgprValuC+16] // *= alpha
	;; [unrolled: 1-line block ×4, first 2 shown]
s_waitcnt vmcnt(0)                                 // wait C

/* apply mask, calc new C and issue writes */

/* StoreRemap: shift coord1 address */
s_mul_i32 s54, s[sgprStrideD1J], 128               // scale StrideD *= numRows(32) * bpe
s_add_u32  s[sgprSrdD+0], s[sgprSrdD+0], s54       // incToNextRow: gra SRD += inc(lower)
s_addc_u32  s[sgprSrdD+1], s[sgprSrdD+1], 0        // incToNextRow: gra SRD += inc(upper)
v_mov_b32 v10, 32                                  // set shift rows
_v_add_u32 v5, v5, v10                             // shift storeRemap coord1
v_mul_lo_u32 v12, s[sgprBeta], v12                 // C = C*beta
_v_add_u32 v[vgprValuC+13], v12, v[vgprValuC+13]   // finalSum = sum*alpha + C*beta
_ds_store_b32 v7, v13, offset:0                    // storeRemap lw
v_mul_lo_u32 v15, s[sgprBeta], v15                 // C = C*beta
_v_add_u32 v[vgprValuC+16], v15, v[vgprValuC+16]   // finalSum = sum*alpha + C*beta
_ds_store_b32 v7, v16, offset:4                    // storeRemap lw
	;; [unrolled: 3-line block ×3, first 2 shown]
v_mul_lo_u32 v21, s[sgprBeta], v21                 // C = C*beta
_v_add_u32 v[vgprValuC+22], v21, v[vgprValuC+22]   // finalSum = sum*alpha + C*beta
_ds_store_b32 v7, v22, offset:12                   // storeRemap lw
s_nop 0                                            // 1 wait state required when next inst writes vgprs held by previous dwordx4 store inst
/* optSingleColVgpr=0 optSharedColVgpr=0 optSGPRUsage=BufferLoad_Edge_Mask optSrdIncForRow=1 */

/******************************************/
/* Global Write Alpha Beta Edge Batch #5 (d1,d0,vc1,vc0) = */
/*    (1,1,0,0:vw1); (1,1,0,1:vw1); (1,1,0,2:vw1); (1,1,0,3:vw1) */
/******************************************/

/* calc coords, apply mask, and issue loads (if necessary) */
/* (d1,vc1,d0,vc0)=(1,0,1,0) */
_v_add_co_u32 v10, vcc, v0, 8                      // coord0.1: coord0 += d0*sg0*VW + vc0
v_cmp_lt_u32 s[54:55], v10, s[sgprSizeI]           // coord0 < size0
v_cmp_lt_u32 s[58:59], v1, s[sgprSizeJ]            // coord1 < size1
s_and_b64 s[58:59], s[54:55], s[58:59]             // in0 && in1
_v_add_lshl_u32 v9, v2, v10, 0x2                   // scaleToBpe: accumulate d0 lower and *= bpe into Cin addr
v_cndmask_b32 v9, -1, v9, s[58:59]                 // LDC clip if OOB. offset
_buffer_load_b32 v12, v9, s[sgprSrdC:sgprSrdC+3], 0, offen offset:0 // load C for beta calc
_v_add_lshl_u32 v9, v3, v10, 0x2                   // scaleToBpe: accumulate d0 lower and *= bpe into Cin addr
v_cndmask_b32 v9, -1, v9, s[58:59]                 // LDD clip if OOB. offset
/* (d1,vc1,d0,vc0)=(1,0,1,1) */
_v_add_co_u32 v10, vcc, v0, 9                      // coord0.1: coord0 += d0*sg0*VW + vc0
v_cmp_lt_u32 s[54:55], v10, s[sgprSizeI]           // coord0 < size0
v_cmp_lt_u32 s[58:59], v1, s[sgprSizeJ]            // coord1 < size1
s_and_b64 s[58:59], s[54:55], s[58:59]             // in0 && in1
_v_add_lshl_u32 v14, v2, v10, 0x2                  // scaleToBpe: accumulate d0 lower and *= bpe into Cin addr
v_cndmask_b32 v14, -1, v14, s[58:59]               // LDC clip if OOB. offset
_buffer_load_b32 v15, v14, s[sgprSrdC:sgprSrdC+3], 0, offen offset:0 // load C for beta calc
_v_add_lshl_u32 v14, v3, v10, 0x2                  // scaleToBpe: accumulate d0 lower and *= bpe into Cin addr
v_cndmask_b32 v14, -1, v14, s[58:59]               // LDD clip if OOB. offset
/* (d1,vc1,d0,vc0)=(1,0,1,2) */
_v_add_co_u32 v10, vcc, v0, 10                     // coord0.1: coord0 += d0*sg0*VW + vc0
v_cmp_lt_u32 s[54:55], v10, s[sgprSizeI]           // coord0 < size0
v_cmp_lt_u32 s[58:59], v1, s[sgprSizeJ]            // coord1 < size1
s_and_b64 s[58:59], s[54:55], s[58:59]             // in0 && in1
_v_add_lshl_u32 v17, v2, v10, 0x2                  // scaleToBpe: accumulate d0 lower and *= bpe into Cin addr
v_cndmask_b32 v17, -1, v17, s[58:59]               // LDC clip if OOB. offset
_buffer_load_b32 v18, v17, s[sgprSrdC:sgprSrdC+3], 0, offen offset:0 // load C for beta calc
_v_add_lshl_u32 v17, v3, v10, 0x2                  // scaleToBpe: accumulate d0 lower and *= bpe into Cin addr
v_cndmask_b32 v17, -1, v17, s[58:59]               // LDD clip if OOB. offset
/* (d1,vc1,d0,vc0)=(1,0,1,3) */
_v_add_co_u32 v10, vcc, v0, 11                     // coord0.1: coord0 += d0*sg0*VW + vc0
v_cmp_lt_u32 s[54:55], v10, s[sgprSizeI]           // coord0 < size0
v_cmp_lt_u32 s[58:59], v1, s[sgprSizeJ]            // coord1 < size1
s_and_b64 s[58:59], s[54:55], s[58:59]             // in0 && in1
_v_add_lshl_u32 v20, v2, v10, 0x2                  // scaleToBpe: accumulate d0 lower and *= bpe into Cin addr
v_cndmask_b32 v20, -1, v20, s[58:59]               // LDC clip if OOB. offset
_buffer_load_b32 v21, v20, s[sgprSrdC:sgprSrdC+3], 0, offen offset:0 // load C for beta calc
_v_add_lshl_u32 v20, v3, v10, 0x2                  // scaleToBpe: accumulate d0 lower and *= bpe into Cin addr
v_cndmask_b32 v20, -1, v20, s[58:59]               // LDD clip if OOB. offset
v_accvgpr_read_b32 v[vgprValuC+13], acc20 // copy acc to vreg[20]
v_accvgpr_read_b32 v[vgprValuC+16], acc21 // copy acc to vreg[21]
v_accvgpr_read_b32 v[vgprValuC+19], acc22 // copy acc to vreg[22]
v_accvgpr_read_b32 v[vgprValuC+22], acc23 // copy acc to vreg[23]
s_nop 1                                            // 2 wait states required before reading vgpr

/* rC *= alpha batchElements=[(1, 1, 0, 0), (1, 1, 0, 1), (1, 1, 0, 2), (1, 1, 0, 3)] */
v_mul_lo_u32 v[vgprValuC+13], s[sgprAlpha], v[vgprValuC+13] // *= alpha
v_mul_lo_u32 v[vgprValuC+16], s[sgprAlpha], v[vgprValuC+16] // *= alpha
	;; [unrolled: 1-line block ×4, first 2 shown]
s_waitcnt vmcnt(0)                                 // wait C

/* apply mask, calc new C and issue writes */
v_mul_lo_u32 v12, s[sgprBeta], v12                 // C = C*beta
_v_add_u32 v[vgprValuC+13], v12, v[vgprValuC+13]   // finalSum = sum*alpha + C*beta
_ds_store_b32 v7, v13, offset:32                   // storeRemap lw
v_mul_lo_u32 v15, s[sgprBeta], v15                 // C = C*beta
_v_add_u32 v[vgprValuC+16], v15, v[vgprValuC+16]   // finalSum = sum*alpha + C*beta
_ds_store_b32 v7, v16, offset:36                   // storeRemap lw
	;; [unrolled: 3-line block ×4, first 2 shown]
s_nop 0                                            // 1 wait state required when next inst writes vgprs held by previous dwordx4 store inst
/* optSingleColVgpr=0 optSharedColVgpr=0 optSGPRUsage=BufferLoad_Edge_Mask optSrdIncForRow=1 */

/******************************************/
/* Global Write Alpha Beta Edge Batch #6 (d1,d0,vc1,vc0) = */
/*    (1,2,0,0:vw1); (1,2,0,1:vw1); (1,2,0,2:vw1); (1,2,0,3:vw1) */
/******************************************/

/* calc coords, apply mask, and issue loads (if necessary) */
/* (d1,vc1,d0,vc0)=(1,0,2,0) */
_v_add_co_u32 v10, vcc, v0, 16                     // coord0.1: coord0 += d0*sg0*VW + vc0
v_cmp_lt_u32 s[54:55], v10, s[sgprSizeI]           // coord0 < size0
v_cmp_lt_u32 s[58:59], v1, s[sgprSizeJ]            // coord1 < size1
s_and_b64 s[58:59], s[54:55], s[58:59]             // in0 && in1
_v_add_lshl_u32 v9, v2, v10, 0x2                   // scaleToBpe: accumulate d0 lower and *= bpe into Cin addr
v_cndmask_b32 v9, -1, v9, s[58:59]                 // LDC clip if OOB. offset
_buffer_load_b32 v12, v9, s[sgprSrdC:sgprSrdC+3], 0, offen offset:0 // load C for beta calc
_v_add_lshl_u32 v9, v3, v10, 0x2                   // scaleToBpe: accumulate d0 lower and *= bpe into Cin addr
v_cndmask_b32 v9, -1, v9, s[58:59]                 // LDD clip if OOB. offset
/* (d1,vc1,d0,vc0)=(1,0,2,1) */
_v_add_co_u32 v10, vcc, v0, 17                     // coord0.1: coord0 += d0*sg0*VW + vc0
v_cmp_lt_u32 s[54:55], v10, s[sgprSizeI]           // coord0 < size0
v_cmp_lt_u32 s[58:59], v1, s[sgprSizeJ]            // coord1 < size1
s_and_b64 s[58:59], s[54:55], s[58:59]             // in0 && in1
_v_add_lshl_u32 v14, v2, v10, 0x2                  // scaleToBpe: accumulate d0 lower and *= bpe into Cin addr
v_cndmask_b32 v14, -1, v14, s[58:59]               // LDC clip if OOB. offset
_buffer_load_b32 v15, v14, s[sgprSrdC:sgprSrdC+3], 0, offen offset:0 // load C for beta calc
_v_add_lshl_u32 v14, v3, v10, 0x2                  // scaleToBpe: accumulate d0 lower and *= bpe into Cin addr
v_cndmask_b32 v14, -1, v14, s[58:59]               // LDD clip if OOB. offset
/* (d1,vc1,d0,vc0)=(1,0,2,2) */
_v_add_co_u32 v10, vcc, v0, 18                     // coord0.1: coord0 += d0*sg0*VW + vc0
v_cmp_lt_u32 s[54:55], v10, s[sgprSizeI]           // coord0 < size0
v_cmp_lt_u32 s[58:59], v1, s[sgprSizeJ]            // coord1 < size1
s_and_b64 s[58:59], s[54:55], s[58:59]             // in0 && in1
_v_add_lshl_u32 v17, v2, v10, 0x2                  // scaleToBpe: accumulate d0 lower and *= bpe into Cin addr
v_cndmask_b32 v17, -1, v17, s[58:59]               // LDC clip if OOB. offset
_buffer_load_b32 v18, v17, s[sgprSrdC:sgprSrdC+3], 0, offen offset:0 // load C for beta calc
_v_add_lshl_u32 v17, v3, v10, 0x2                  // scaleToBpe: accumulate d0 lower and *= bpe into Cin addr
v_cndmask_b32 v17, -1, v17, s[58:59]               // LDD clip if OOB. offset
	;; [unrolled: 10-line block ×3, first 2 shown]
v_accvgpr_read_b32 v[vgprValuC+13], acc24 // copy acc to vreg[24]
v_accvgpr_read_b32 v[vgprValuC+16], acc25 // copy acc to vreg[25]
v_accvgpr_read_b32 v[vgprValuC+19], acc26 // copy acc to vreg[26]
v_accvgpr_read_b32 v[vgprValuC+22], acc27 // copy acc to vreg[27]
s_nop 1                                            // 2 wait states required before reading vgpr

/* rC *= alpha batchElements=[(1, 2, 0, 0), (1, 2, 0, 1), (1, 2, 0, 2), (1, 2, 0, 3)] */
v_mul_lo_u32 v[vgprValuC+13], s[sgprAlpha], v[vgprValuC+13] // *= alpha
v_mul_lo_u32 v[vgprValuC+16], s[sgprAlpha], v[vgprValuC+16] // *= alpha
	;; [unrolled: 1-line block ×4, first 2 shown]
s_waitcnt vmcnt(0)                                 // wait C

/* apply mask, calc new C and issue writes */
v_mul_lo_u32 v12, s[sgprBeta], v12                 // C = C*beta
_v_add_u32 v[vgprValuC+13], v12, v[vgprValuC+13]   // finalSum = sum*alpha + C*beta
_ds_store_b32 v7, v13, offset:64                   // storeRemap lw
v_mul_lo_u32 v15, s[sgprBeta], v15                 // C = C*beta
_v_add_u32 v[vgprValuC+16], v15, v[vgprValuC+16]   // finalSum = sum*alpha + C*beta
_ds_store_b32 v7, v16, offset:68                   // storeRemap lw
	;; [unrolled: 3-line block ×4, first 2 shown]
s_nop 0                                            // 1 wait state required when next inst writes vgprs held by previous dwordx4 store inst
/* optSingleColVgpr=0 optSharedColVgpr=0 optSGPRUsage=BufferLoad_Edge_Mask optSrdIncForRow=1 */

/******************************************/
/* Global Write Alpha Beta Edge Batch #7 (d1,d0,vc1,vc0) = */
/*    (1,3,0,0:vw1); (1,3,0,1:vw1); (1,3,0,2:vw1); (1,3,0,3:vw1) */
/******************************************/

/* calc coords, apply mask, and issue loads (if necessary) */
/* (d1,vc1,d0,vc0)=(1,0,3,0) */
_v_add_co_u32 v10, vcc, v0, 24                     // coord0.1: coord0 += d0*sg0*VW + vc0
v_cmp_lt_u32 s[54:55], v10, s[sgprSizeI]           // coord0 < size0
v_cmp_lt_u32 s[58:59], v1, s[sgprSizeJ]            // coord1 < size1
s_and_b64 s[58:59], s[54:55], s[58:59]             // in0 && in1
_v_add_lshl_u32 v9, v2, v10, 0x2                   // scaleToBpe: accumulate d0 lower and *= bpe into Cin addr
v_cndmask_b32 v9, -1, v9, s[58:59]                 // LDC clip if OOB. offset
_buffer_load_b32 v12, v9, s[sgprSrdC:sgprSrdC+3], 0, offen offset:0 // load C for beta calc
_v_add_lshl_u32 v9, v3, v10, 0x2                   // scaleToBpe: accumulate d0 lower and *= bpe into Cin addr
v_cndmask_b32 v9, -1, v9, s[58:59]                 // LDD clip if OOB. offset
/* (d1,vc1,d0,vc0)=(1,0,3,1) */
_v_add_co_u32 v10, vcc, v0, 25                     // coord0.1: coord0 += d0*sg0*VW + vc0
v_cmp_lt_u32 s[54:55], v10, s[sgprSizeI]           // coord0 < size0
v_cmp_lt_u32 s[58:59], v1, s[sgprSizeJ]            // coord1 < size1
s_and_b64 s[58:59], s[54:55], s[58:59]             // in0 && in1
_v_add_lshl_u32 v14, v2, v10, 0x2                  // scaleToBpe: accumulate d0 lower and *= bpe into Cin addr
v_cndmask_b32 v14, -1, v14, s[58:59]               // LDC clip if OOB. offset
_buffer_load_b32 v15, v14, s[sgprSrdC:sgprSrdC+3], 0, offen offset:0 // load C for beta calc
_v_add_lshl_u32 v14, v3, v10, 0x2                  // scaleToBpe: accumulate d0 lower and *= bpe into Cin addr
v_cndmask_b32 v14, -1, v14, s[58:59]               // LDD clip if OOB. offset
/* (d1,vc1,d0,vc0)=(1,0,3,2) */
_v_add_co_u32 v10, vcc, v0, 26                     // coord0.1: coord0 += d0*sg0*VW + vc0
v_cmp_lt_u32 s[54:55], v10, s[sgprSizeI]           // coord0 < size0
v_cmp_lt_u32 s[58:59], v1, s[sgprSizeJ]            // coord1 < size1
s_and_b64 s[58:59], s[54:55], s[58:59]             // in0 && in1
_v_add_lshl_u32 v17, v2, v10, 0x2                  // scaleToBpe: accumulate d0 lower and *= bpe into Cin addr
v_cndmask_b32 v17, -1, v17, s[58:59]               // LDC clip if OOB. offset
_buffer_load_b32 v18, v17, s[sgprSrdC:sgprSrdC+3], 0, offen offset:0 // load C for beta calc
_v_add_lshl_u32 v17, v3, v10, 0x2                  // scaleToBpe: accumulate d0 lower and *= bpe into Cin addr
v_cndmask_b32 v17, -1, v17, s[58:59]               // LDD clip if OOB. offset
/* (d1,vc1,d0,vc0)=(1,0,3,3) */
_v_add_co_u32 v10, vcc, v0, 27                     // coord0.1: coord0 += d0*sg0*VW + vc0
v_cmp_lt_u32 s[54:55], v10, s[sgprSizeI]           // coord0 < size0
v_cmp_lt_u32 s[58:59], v1, s[sgprSizeJ]            // coord1 < size1
s_and_b64 s[58:59], s[54:55], s[58:59]             // in0 && in1
_v_add_lshl_u32 v20, v2, v10, 0x2                  // scaleToBpe: accumulate d0 lower and *= bpe into Cin addr
v_cndmask_b32 v20, -1, v20, s[58:59]               // LDC clip if OOB. offset
_buffer_load_b32 v21, v20, s[sgprSrdC:sgprSrdC+3], 0, offen offset:0 // load C for beta calc
_v_add_lshl_u32 v20, v3, v10, 0x2                  // scaleToBpe: accumulate d0 lower and *= bpe into Cin addr
v_cndmask_b32 v20, -1, v20, s[58:59]               // LDD clip if OOB. offset
v_accvgpr_read_b32 v[vgprValuC+13], acc28 // copy acc to vreg[28]
v_accvgpr_read_b32 v[vgprValuC+16], acc29 // copy acc to vreg[29]
v_accvgpr_read_b32 v[vgprValuC+19], acc30 // copy acc to vreg[30]
v_accvgpr_read_b32 v[vgprValuC+22], acc31 // copy acc to vreg[31]
s_nop 1                                            // 2 wait states required before reading vgpr

/* rC *= alpha batchElements=[(1, 3, 0, 0), (1, 3, 0, 1), (1, 3, 0, 2), (1, 3, 0, 3)] */
v_mul_lo_u32 v[vgprValuC+13], s[sgprAlpha], v[vgprValuC+13] // *= alpha
v_mul_lo_u32 v[vgprValuC+16], s[sgprAlpha], v[vgprValuC+16] // *= alpha
	;; [unrolled: 1-line block ×4, first 2 shown]
s_waitcnt vmcnt(0)                                 // wait C

/* apply mask, calc new C and issue writes */
v_mul_lo_u32 v12, s[sgprBeta], v12                 // C = C*beta
_v_add_u32 v[vgprValuC+13], v12, v[vgprValuC+13]   // finalSum = sum*alpha + C*beta
_ds_store_b32 v7, v13, offset:96                   // storeRemap lw
v_mul_lo_u32 v15, s[sgprBeta], v15                 // C = C*beta
_v_add_u32 v[vgprValuC+16], v15, v[vgprValuC+16]   // finalSum = sum*alpha + C*beta
_ds_store_b32 v7, v16, offset:100                  // storeRemap lw
v_mul_lo_u32 v18, s[sgprBeta], v18                 // C = C*beta
_v_add_u32 v[vgprValuC+19], v18, v[vgprValuC+19]   // finalSum = sum*alpha + C*beta
_ds_store_b32 v7, v19, offset:104                  // storeRemap lw
v_mul_lo_u32 v21, s[sgprBeta], v21                 // C = C*beta
_v_add_u32 v[vgprValuC+22], v21, v[vgprValuC+22]   // finalSum = sum*alpha + C*beta
_ds_store_b32 v7, v22, offset:108                  // storeRemap lw

/* Handle local read and global write */
s_waitcnt lgkmcnt(0)                               // wait for LDS write
s_barrier //wait all lds write finished

_ds_load_b128 v[12:15], v8, offset:0               // storeRemap lr
_ds_load_b128 v[16:19], v8, offset:1056            // storeRemap lr
_ds_load_b128 v[20:23], v8, offset:2112            // storeRemap lr
	;; [unrolled: 1-line block ×3, first 2 shown]

s_waitcnt lgkmcnt(3)                               // wait for LDS read
_v_add_u32 v11, v5, 0                              // coord1 += nColPerLoad
_v_add_u32 v10, v4, 0                              // coord0 += element index of load vector
_v_add_u32 v9, v6, 0                               // offset coord1 += nColPerLoad
v_cmp_lt_u32 s[54:55], v10, s[sgprSizeI]           // coord0 < size0
v_cmp_lt_u32 s[56:57], v11, s[sgprSizeJ]           // coord1 < size1
s_and_b64 s[56:57], s[54:55], s[56:57]             // in0 && in1
v_mul_lo_u32 v9, v9, s[sgprStrideD1J]              // coord1 element offset =  coord1 * StrideD
_v_add_lshl_u32 v9, v9, v10, 0x2                   // scale to BPE
v_cndmask_b32 v9, -1, v9, s[56:57]                 // clip if OOB. offset
_buffer_store_b32 v12, v9, s[sgprSrdD:sgprSrdD+3], 0, offen, offset:0 // store D
_v_add_u32 v11, v5, 0                              // coord1 += nColPerLoad
_v_add_u32 v10, v4, 1                              // coord0 += element index of load vector
_v_add_u32 v9, v6, 0                               // offset coord1 += nColPerLoad
v_cmp_lt_u32 s[54:55], v10, s[sgprSizeI]           // coord0 < size0
v_cmp_lt_u32 s[56:57], v11, s[sgprSizeJ]           // coord1 < size1
s_and_b64 s[56:57], s[54:55], s[56:57]             // in0 && in1
v_mul_lo_u32 v9, v9, s[sgprStrideD1J]              // coord1 element offset =  coord1 * StrideD
_v_add_lshl_u32 v9, v9, v10, 0x2                   // scale to BPE
v_cndmask_b32 v9, -1, v9, s[56:57]                 // clip if OOB. offset
_buffer_store_b32 v13, v9, s[sgprSrdD:sgprSrdD+3], 0, offen, offset:0 // store D
_v_add_u32 v11, v5, 0                              // coord1 += nColPerLoad
_v_add_u32 v10, v4, 2                              // coord0 += element index of load vector
_v_add_u32 v9, v6, 0                               // offset coord1 += nColPerLoad
v_cmp_lt_u32 s[54:55], v10, s[sgprSizeI]           // coord0 < size0
v_cmp_lt_u32 s[56:57], v11, s[sgprSizeJ]           // coord1 < size1
s_and_b64 s[56:57], s[54:55], s[56:57]             // in0 && in1
v_mul_lo_u32 v9, v9, s[sgprStrideD1J]              // coord1 element offset =  coord1 * StrideD
_v_add_lshl_u32 v9, v9, v10, 0x2                   // scale to BPE
v_cndmask_b32 v9, -1, v9, s[56:57]                 // clip if OOB. offset
_buffer_store_b32 v14, v9, s[sgprSrdD:sgprSrdD+3], 0, offen, offset:0 // store D
_v_add_u32 v11, v5, 0                              // coord1 += nColPerLoad
_v_add_u32 v10, v4, 3                              // coord0 += element index of load vector
_v_add_u32 v9, v6, 0                               // offset coord1 += nColPerLoad
v_cmp_lt_u32 s[54:55], v10, s[sgprSizeI]           // coord0 < size0
v_cmp_lt_u32 s[56:57], v11, s[sgprSizeJ]           // coord1 < size1
s_and_b64 s[56:57], s[54:55], s[56:57]             // in0 && in1
v_mul_lo_u32 v9, v9, s[sgprStrideD1J]              // coord1 element offset =  coord1 * StrideD
_v_add_lshl_u32 v9, v9, v10, 0x2                   // scale to BPE
v_cndmask_b32 v9, -1, v9, s[56:57]                 // clip if OOB. offset
_buffer_store_b32 v15, v9, s[sgprSrdD:sgprSrdD+3], 0, offen, offset:0 // store D
s_waitcnt lgkmcnt(2)                               // wait for LDS read
_v_add_u32 v11, v5, 2                              // coord1 += nColPerLoad
_v_add_u32 v10, v4, 0                              // coord0 += element index of load vector
_v_add_u32 v9, v6, 2                               // offset coord1 += nColPerLoad
v_cmp_lt_u32 s[54:55], v10, s[sgprSizeI]           // coord0 < size0
v_cmp_lt_u32 s[56:57], v11, s[sgprSizeJ]           // coord1 < size1
s_and_b64 s[56:57], s[54:55], s[56:57]             // in0 && in1
v_mul_lo_u32 v9, v9, s[sgprStrideD1J]              // coord1 element offset =  coord1 * StrideD
_v_add_lshl_u32 v9, v9, v10, 0x2                   // scale to BPE
v_cndmask_b32 v9, -1, v9, s[56:57]                 // clip if OOB. offset
_buffer_store_b32 v16, v9, s[sgprSrdD:sgprSrdD+3], 0, offen, offset:0 // store D
_v_add_u32 v11, v5, 2                              // coord1 += nColPerLoad
_v_add_u32 v10, v4, 1                              // coord0 += element index of load vector
_v_add_u32 v9, v6, 2                               // offset coord1 += nColPerLoad
v_cmp_lt_u32 s[54:55], v10, s[sgprSizeI]           // coord0 < size0
v_cmp_lt_u32 s[56:57], v11, s[sgprSizeJ]           // coord1 < size1
s_and_b64 s[56:57], s[54:55], s[56:57]             // in0 && in1
v_mul_lo_u32 v9, v9, s[sgprStrideD1J]              // coord1 element offset =  coord1 * StrideD
_v_add_lshl_u32 v9, v9, v10, 0x2                   // scale to BPE
v_cndmask_b32 v9, -1, v9, s[56:57]                 // clip if OOB. offset
_buffer_store_b32 v17, v9, s[sgprSrdD:sgprSrdD+3], 0, offen, offset:0 // store D
_v_add_u32 v11, v5, 2                              // coord1 += nColPerLoad
_v_add_u32 v10, v4, 2                              // coord0 += element index of load vector
_v_add_u32 v9, v6, 2                               // offset coord1 += nColPerLoad
v_cmp_lt_u32 s[54:55], v10, s[sgprSizeI]           // coord0 < size0
v_cmp_lt_u32 s[56:57], v11, s[sgprSizeJ]           // coord1 < size1
s_and_b64 s[56:57], s[54:55], s[56:57]             // in0 && in1
v_mul_lo_u32 v9, v9, s[sgprStrideD1J]              // coord1 element offset =  coord1 * StrideD
_v_add_lshl_u32 v9, v9, v10, 0x2                   // scale to BPE
v_cndmask_b32 v9, -1, v9, s[56:57]                 // clip if OOB. offset
_buffer_store_b32 v18, v9, s[sgprSrdD:sgprSrdD+3], 0, offen, offset:0 // store D
_v_add_u32 v11, v5, 2                              // coord1 += nColPerLoad
_v_add_u32 v10, v4, 3                              // coord0 += element index of load vector
_v_add_u32 v9, v6, 2                               // offset coord1 += nColPerLoad
v_cmp_lt_u32 s[54:55], v10, s[sgprSizeI]           // coord0 < size0
v_cmp_lt_u32 s[56:57], v11, s[sgprSizeJ]           // coord1 < size1
s_and_b64 s[56:57], s[54:55], s[56:57]             // in0 && in1
v_mul_lo_u32 v9, v9, s[sgprStrideD1J]              // coord1 element offset =  coord1 * StrideD
_v_add_lshl_u32 v9, v9, v10, 0x2                   // scale to BPE
v_cndmask_b32 v9, -1, v9, s[56:57]                 // clip if OOB. offset
_buffer_store_b32 v19, v9, s[sgprSrdD:sgprSrdD+3], 0, offen, offset:0 // store D
	;; [unrolled: 41-line block ×4, first 2 shown]

s_barrier //wait all lds read finished
s_nop 0                                            // 1 wait state required when next inst writes vgprs held by previous dwordx4 store inst
/* optSingleColVgpr=0 optSharedColVgpr=0 optSGPRUsage=BufferLoad_Edge_Mask optSrdIncForRow=1 */

/******************************************/
/* Global Write Alpha Beta Edge Batch #8 (d1,d0,vc1,vc0) = */
/*    (2,0,0,0:vw1); (2,0,0,1:vw1); (2,0,0,2:vw1); (2,0,0,3:vw1) */
/******************************************/

/* calc coords, apply mask, and issue loads (if necessary) */
/* (d1,vc1,d0,vc0)=(2,0,0,0) */
_v_add_co_u32 v1, vcc, v1, 32                      // coord1.1: coord1Vgpr += d1*sg1*VW + vc1
v_cmp_lt_u32 s[54:55], v0, s[sgprSizeI]            // coord0 < size0
v_cmp_lt_u32 s[58:59], v1, s[sgprSizeJ]            // coord1 < size1
s_and_b64 s[58:59], s[54:55], s[58:59]             // in0 && in1
_v_add_lshl_u32 v9, v2, v0, 0x2                    // scaleToBpe: accumulate d0 lower and *= bpe into Cin addr
v_cndmask_b32 v9, -1, v9, s[58:59]                 // LDC clip if OOB. offset
s_mul_i32 s54, s[sgprStrideC1J], 128               // scale StrideC *= numRows(32) * bpe
s_add_u32  s[sgprSrdC+0], s[sgprSrdC+0], s54       // incToNextRow: gra SRD += inc(lower)
s_addc_u32  s[sgprSrdC+1], s[sgprSrdC+1], 0        // incToNextRow: gra SRD += inc(upper)
_buffer_load_b32 v12, v9, s[sgprSrdC:sgprSrdC+3], 0, offen offset:0 // load C for beta calc
_v_add_lshl_u32 v9, v3, v0, 0x2                    // scaleToBpe: accumulate d0 lower and *= bpe into Cin addr
v_cndmask_b32 v9, -1, v9, s[58:59]                 // LDD clip if OOB. offset
/* (d1,vc1,d0,vc0)=(2,0,0,1) */
_v_add_co_u32 v10, vcc, v0, 1                      // coord0.1: coord0 += d0*sg0*VW + vc0
v_cmp_lt_u32 s[54:55], v10, s[sgprSizeI]           // coord0 < size0
v_cmp_lt_u32 s[58:59], v1, s[sgprSizeJ]            // coord1 < size1
s_and_b64 s[58:59], s[54:55], s[58:59]             // in0 && in1
_v_add_lshl_u32 v14, v2, v10, 0x2                  // scaleToBpe: accumulate d0 lower and *= bpe into Cin addr
v_cndmask_b32 v14, -1, v14, s[58:59]               // LDC clip if OOB. offset
_buffer_load_b32 v15, v14, s[sgprSrdC:sgprSrdC+3], 0, offen offset:0 // load C for beta calc
_v_add_lshl_u32 v14, v3, v10, 0x2                  // scaleToBpe: accumulate d0 lower and *= bpe into Cin addr
v_cndmask_b32 v14, -1, v14, s[58:59]               // LDD clip if OOB. offset
/* (d1,vc1,d0,vc0)=(2,0,0,2) */
_v_add_co_u32 v10, vcc, v0, 2                      // coord0.1: coord0 += d0*sg0*VW + vc0
v_cmp_lt_u32 s[54:55], v10, s[sgprSizeI]           // coord0 < size0
v_cmp_lt_u32 s[58:59], v1, s[sgprSizeJ]            // coord1 < size1
s_and_b64 s[58:59], s[54:55], s[58:59]             // in0 && in1
_v_add_lshl_u32 v17, v2, v10, 0x2                  // scaleToBpe: accumulate d0 lower and *= bpe into Cin addr
v_cndmask_b32 v17, -1, v17, s[58:59]               // LDC clip if OOB. offset
_buffer_load_b32 v18, v17, s[sgprSrdC:sgprSrdC+3], 0, offen offset:0 // load C for beta calc
_v_add_lshl_u32 v17, v3, v10, 0x2                  // scaleToBpe: accumulate d0 lower and *= bpe into Cin addr
v_cndmask_b32 v17, -1, v17, s[58:59]               // LDD clip if OOB. offset
	;; [unrolled: 10-line block ×3, first 2 shown]
v_accvgpr_read_b32 v[vgprValuC+13], acc32 // copy acc to vreg[32]
v_accvgpr_read_b32 v[vgprValuC+16], acc33 // copy acc to vreg[33]
v_accvgpr_read_b32 v[vgprValuC+19], acc34 // copy acc to vreg[34]
v_accvgpr_read_b32 v[vgprValuC+22], acc35 // copy acc to vreg[35]
s_nop 1                                            // 2 wait states required before reading vgpr

/* rC *= alpha batchElements=[(2, 0, 0, 0), (2, 0, 0, 1), (2, 0, 0, 2), (2, 0, 0, 3)] */
v_mul_lo_u32 v[vgprValuC+13], s[sgprAlpha], v[vgprValuC+13] // *= alpha
v_mul_lo_u32 v[vgprValuC+16], s[sgprAlpha], v[vgprValuC+16] // *= alpha
	;; [unrolled: 1-line block ×4, first 2 shown]
s_waitcnt vmcnt(0)                                 // wait C

/* apply mask, calc new C and issue writes */

/* StoreRemap: shift coord1 address */
s_mul_i32 s54, s[sgprStrideD1J], 128               // scale StrideD *= numRows(32) * bpe
s_add_u32  s[sgprSrdD+0], s[sgprSrdD+0], s54       // incToNextRow: gra SRD += inc(lower)
s_addc_u32  s[sgprSrdD+1], s[sgprSrdD+1], 0        // incToNextRow: gra SRD += inc(upper)
v_mov_b32 v10, 32                                  // set shift rows
_v_add_u32 v5, v5, v10                             // shift storeRemap coord1
v_mul_lo_u32 v12, s[sgprBeta], v12                 // C = C*beta
_v_add_u32 v[vgprValuC+13], v12, v[vgprValuC+13]   // finalSum = sum*alpha + C*beta
_ds_store_b32 v7, v13, offset:0                    // storeRemap lw
v_mul_lo_u32 v15, s[sgprBeta], v15                 // C = C*beta
_v_add_u32 v[vgprValuC+16], v15, v[vgprValuC+16]   // finalSum = sum*alpha + C*beta
_ds_store_b32 v7, v16, offset:4                    // storeRemap lw
	;; [unrolled: 3-line block ×3, first 2 shown]
v_mul_lo_u32 v21, s[sgprBeta], v21                 // C = C*beta
_v_add_u32 v[vgprValuC+22], v21, v[vgprValuC+22]   // finalSum = sum*alpha + C*beta
_ds_store_b32 v7, v22, offset:12                   // storeRemap lw
s_nop 0                                            // 1 wait state required when next inst writes vgprs held by previous dwordx4 store inst
/* optSingleColVgpr=0 optSharedColVgpr=0 optSGPRUsage=BufferLoad_Edge_Mask optSrdIncForRow=1 */

/******************************************/
/* Global Write Alpha Beta Edge Batch #9 (d1,d0,vc1,vc0) = */
/*    (2,1,0,0:vw1); (2,1,0,1:vw1); (2,1,0,2:vw1); (2,1,0,3:vw1) */
/******************************************/

/* calc coords, apply mask, and issue loads (if necessary) */
/* (d1,vc1,d0,vc0)=(2,0,1,0) */
_v_add_co_u32 v10, vcc, v0, 8                      // coord0.1: coord0 += d0*sg0*VW + vc0
v_cmp_lt_u32 s[54:55], v10, s[sgprSizeI]           // coord0 < size0
v_cmp_lt_u32 s[58:59], v1, s[sgprSizeJ]            // coord1 < size1
s_and_b64 s[58:59], s[54:55], s[58:59]             // in0 && in1
_v_add_lshl_u32 v9, v2, v10, 0x2                   // scaleToBpe: accumulate d0 lower and *= bpe into Cin addr
v_cndmask_b32 v9, -1, v9, s[58:59]                 // LDC clip if OOB. offset
_buffer_load_b32 v12, v9, s[sgprSrdC:sgprSrdC+3], 0, offen offset:0 // load C for beta calc
_v_add_lshl_u32 v9, v3, v10, 0x2                   // scaleToBpe: accumulate d0 lower and *= bpe into Cin addr
v_cndmask_b32 v9, -1, v9, s[58:59]                 // LDD clip if OOB. offset
/* (d1,vc1,d0,vc0)=(2,0,1,1) */
_v_add_co_u32 v10, vcc, v0, 9                      // coord0.1: coord0 += d0*sg0*VW + vc0
v_cmp_lt_u32 s[54:55], v10, s[sgprSizeI]           // coord0 < size0
v_cmp_lt_u32 s[58:59], v1, s[sgprSizeJ]            // coord1 < size1
s_and_b64 s[58:59], s[54:55], s[58:59]             // in0 && in1
_v_add_lshl_u32 v14, v2, v10, 0x2                  // scaleToBpe: accumulate d0 lower and *= bpe into Cin addr
v_cndmask_b32 v14, -1, v14, s[58:59]               // LDC clip if OOB. offset
_buffer_load_b32 v15, v14, s[sgprSrdC:sgprSrdC+3], 0, offen offset:0 // load C for beta calc
_v_add_lshl_u32 v14, v3, v10, 0x2                  // scaleToBpe: accumulate d0 lower and *= bpe into Cin addr
v_cndmask_b32 v14, -1, v14, s[58:59]               // LDD clip if OOB. offset
/* (d1,vc1,d0,vc0)=(2,0,1,2) */
_v_add_co_u32 v10, vcc, v0, 10                     // coord0.1: coord0 += d0*sg0*VW + vc0
v_cmp_lt_u32 s[54:55], v10, s[sgprSizeI]           // coord0 < size0
v_cmp_lt_u32 s[58:59], v1, s[sgprSizeJ]            // coord1 < size1
s_and_b64 s[58:59], s[54:55], s[58:59]             // in0 && in1
_v_add_lshl_u32 v17, v2, v10, 0x2                  // scaleToBpe: accumulate d0 lower and *= bpe into Cin addr
v_cndmask_b32 v17, -1, v17, s[58:59]               // LDC clip if OOB. offset
_buffer_load_b32 v18, v17, s[sgprSrdC:sgprSrdC+3], 0, offen offset:0 // load C for beta calc
_v_add_lshl_u32 v17, v3, v10, 0x2                  // scaleToBpe: accumulate d0 lower and *= bpe into Cin addr
v_cndmask_b32 v17, -1, v17, s[58:59]               // LDD clip if OOB. offset
/* (d1,vc1,d0,vc0)=(2,0,1,3) */
_v_add_co_u32 v10, vcc, v0, 11                     // coord0.1: coord0 += d0*sg0*VW + vc0
v_cmp_lt_u32 s[54:55], v10, s[sgprSizeI]           // coord0 < size0
v_cmp_lt_u32 s[58:59], v1, s[sgprSizeJ]            // coord1 < size1
s_and_b64 s[58:59], s[54:55], s[58:59]             // in0 && in1
_v_add_lshl_u32 v20, v2, v10, 0x2                  // scaleToBpe: accumulate d0 lower and *= bpe into Cin addr
v_cndmask_b32 v20, -1, v20, s[58:59]               // LDC clip if OOB. offset
_buffer_load_b32 v21, v20, s[sgprSrdC:sgprSrdC+3], 0, offen offset:0 // load C for beta calc
_v_add_lshl_u32 v20, v3, v10, 0x2                  // scaleToBpe: accumulate d0 lower and *= bpe into Cin addr
v_cndmask_b32 v20, -1, v20, s[58:59]               // LDD clip if OOB. offset
v_accvgpr_read_b32 v[vgprValuC+13], acc36 // copy acc to vreg[36]
v_accvgpr_read_b32 v[vgprValuC+16], acc37 // copy acc to vreg[37]
v_accvgpr_read_b32 v[vgprValuC+19], acc38 // copy acc to vreg[38]
v_accvgpr_read_b32 v[vgprValuC+22], acc39 // copy acc to vreg[39]
s_nop 1                                            // 2 wait states required before reading vgpr

/* rC *= alpha batchElements=[(2, 1, 0, 0), (2, 1, 0, 1), (2, 1, 0, 2), (2, 1, 0, 3)] */
v_mul_lo_u32 v[vgprValuC+13], s[sgprAlpha], v[vgprValuC+13] // *= alpha
v_mul_lo_u32 v[vgprValuC+16], s[sgprAlpha], v[vgprValuC+16] // *= alpha
	;; [unrolled: 1-line block ×4, first 2 shown]
s_waitcnt vmcnt(0)                                 // wait C

/* apply mask, calc new C and issue writes */
v_mul_lo_u32 v12, s[sgprBeta], v12                 // C = C*beta
_v_add_u32 v[vgprValuC+13], v12, v[vgprValuC+13]   // finalSum = sum*alpha + C*beta
_ds_store_b32 v7, v13, offset:32                   // storeRemap lw
v_mul_lo_u32 v15, s[sgprBeta], v15                 // C = C*beta
_v_add_u32 v[vgprValuC+16], v15, v[vgprValuC+16]   // finalSum = sum*alpha + C*beta
_ds_store_b32 v7, v16, offset:36                   // storeRemap lw
	;; [unrolled: 3-line block ×4, first 2 shown]
s_nop 0                                            // 1 wait state required when next inst writes vgprs held by previous dwordx4 store inst
/* optSingleColVgpr=0 optSharedColVgpr=0 optSGPRUsage=BufferLoad_Edge_Mask optSrdIncForRow=1 */

/******************************************/
/* Global Write Alpha Beta Edge Batch #10 (d1,d0,vc1,vc0) = */
/*    (2,2,0,0:vw1); (2,2,0,1:vw1); (2,2,0,2:vw1); (2,2,0,3:vw1) */
/******************************************/

/* calc coords, apply mask, and issue loads (if necessary) */
/* (d1,vc1,d0,vc0)=(2,0,2,0) */
_v_add_co_u32 v10, vcc, v0, 16                     // coord0.1: coord0 += d0*sg0*VW + vc0
v_cmp_lt_u32 s[54:55], v10, s[sgprSizeI]           // coord0 < size0
v_cmp_lt_u32 s[58:59], v1, s[sgprSizeJ]            // coord1 < size1
s_and_b64 s[58:59], s[54:55], s[58:59]             // in0 && in1
_v_add_lshl_u32 v9, v2, v10, 0x2                   // scaleToBpe: accumulate d0 lower and *= bpe into Cin addr
v_cndmask_b32 v9, -1, v9, s[58:59]                 // LDC clip if OOB. offset
_buffer_load_b32 v12, v9, s[sgprSrdC:sgprSrdC+3], 0, offen offset:0 // load C for beta calc
_v_add_lshl_u32 v9, v3, v10, 0x2                   // scaleToBpe: accumulate d0 lower and *= bpe into Cin addr
v_cndmask_b32 v9, -1, v9, s[58:59]                 // LDD clip if OOB. offset
/* (d1,vc1,d0,vc0)=(2,0,2,1) */
_v_add_co_u32 v10, vcc, v0, 17                     // coord0.1: coord0 += d0*sg0*VW + vc0
v_cmp_lt_u32 s[54:55], v10, s[sgprSizeI]           // coord0 < size0
v_cmp_lt_u32 s[58:59], v1, s[sgprSizeJ]            // coord1 < size1
s_and_b64 s[58:59], s[54:55], s[58:59]             // in0 && in1
_v_add_lshl_u32 v14, v2, v10, 0x2                  // scaleToBpe: accumulate d0 lower and *= bpe into Cin addr
v_cndmask_b32 v14, -1, v14, s[58:59]               // LDC clip if OOB. offset
_buffer_load_b32 v15, v14, s[sgprSrdC:sgprSrdC+3], 0, offen offset:0 // load C for beta calc
_v_add_lshl_u32 v14, v3, v10, 0x2                  // scaleToBpe: accumulate d0 lower and *= bpe into Cin addr
v_cndmask_b32 v14, -1, v14, s[58:59]               // LDD clip if OOB. offset
/* (d1,vc1,d0,vc0)=(2,0,2,2) */
_v_add_co_u32 v10, vcc, v0, 18                     // coord0.1: coord0 += d0*sg0*VW + vc0
v_cmp_lt_u32 s[54:55], v10, s[sgprSizeI]           // coord0 < size0
v_cmp_lt_u32 s[58:59], v1, s[sgprSizeJ]            // coord1 < size1
s_and_b64 s[58:59], s[54:55], s[58:59]             // in0 && in1
_v_add_lshl_u32 v17, v2, v10, 0x2                  // scaleToBpe: accumulate d0 lower and *= bpe into Cin addr
v_cndmask_b32 v17, -1, v17, s[58:59]               // LDC clip if OOB. offset
_buffer_load_b32 v18, v17, s[sgprSrdC:sgprSrdC+3], 0, offen offset:0 // load C for beta calc
_v_add_lshl_u32 v17, v3, v10, 0x2                  // scaleToBpe: accumulate d0 lower and *= bpe into Cin addr
v_cndmask_b32 v17, -1, v17, s[58:59]               // LDD clip if OOB. offset
	;; [unrolled: 10-line block ×3, first 2 shown]
v_accvgpr_read_b32 v[vgprValuC+13], acc40 // copy acc to vreg[40]
v_accvgpr_read_b32 v[vgprValuC+16], acc41 // copy acc to vreg[41]
v_accvgpr_read_b32 v[vgprValuC+19], acc42 // copy acc to vreg[42]
v_accvgpr_read_b32 v[vgprValuC+22], acc43 // copy acc to vreg[43]
s_nop 1                                            // 2 wait states required before reading vgpr

/* rC *= alpha batchElements=[(2, 2, 0, 0), (2, 2, 0, 1), (2, 2, 0, 2), (2, 2, 0, 3)] */
v_mul_lo_u32 v[vgprValuC+13], s[sgprAlpha], v[vgprValuC+13] // *= alpha
v_mul_lo_u32 v[vgprValuC+16], s[sgprAlpha], v[vgprValuC+16] // *= alpha
	;; [unrolled: 1-line block ×4, first 2 shown]
s_waitcnt vmcnt(0)                                 // wait C

/* apply mask, calc new C and issue writes */
v_mul_lo_u32 v12, s[sgprBeta], v12                 // C = C*beta
_v_add_u32 v[vgprValuC+13], v12, v[vgprValuC+13]   // finalSum = sum*alpha + C*beta
_ds_store_b32 v7, v13, offset:64                   // storeRemap lw
v_mul_lo_u32 v15, s[sgprBeta], v15                 // C = C*beta
_v_add_u32 v[vgprValuC+16], v15, v[vgprValuC+16]   // finalSum = sum*alpha + C*beta
_ds_store_b32 v7, v16, offset:68                   // storeRemap lw
	;; [unrolled: 3-line block ×4, first 2 shown]
s_nop 0                                            // 1 wait state required when next inst writes vgprs held by previous dwordx4 store inst
/* optSingleColVgpr=0 optSharedColVgpr=0 optSGPRUsage=BufferLoad_Edge_Mask optSrdIncForRow=1 */

/******************************************/
/* Global Write Alpha Beta Edge Batch #11 (d1,d0,vc1,vc0) = */
/*    (2,3,0,0:vw1); (2,3,0,1:vw1); (2,3,0,2:vw1); (2,3,0,3:vw1) */
/******************************************/

/* calc coords, apply mask, and issue loads (if necessary) */
/* (d1,vc1,d0,vc0)=(2,0,3,0) */
_v_add_co_u32 v10, vcc, v0, 24                     // coord0.1: coord0 += d0*sg0*VW + vc0
v_cmp_lt_u32 s[54:55], v10, s[sgprSizeI]           // coord0 < size0
v_cmp_lt_u32 s[58:59], v1, s[sgprSizeJ]            // coord1 < size1
s_and_b64 s[58:59], s[54:55], s[58:59]             // in0 && in1
_v_add_lshl_u32 v9, v2, v10, 0x2                   // scaleToBpe: accumulate d0 lower and *= bpe into Cin addr
v_cndmask_b32 v9, -1, v9, s[58:59]                 // LDC clip if OOB. offset
_buffer_load_b32 v12, v9, s[sgprSrdC:sgprSrdC+3], 0, offen offset:0 // load C for beta calc
_v_add_lshl_u32 v9, v3, v10, 0x2                   // scaleToBpe: accumulate d0 lower and *= bpe into Cin addr
v_cndmask_b32 v9, -1, v9, s[58:59]                 // LDD clip if OOB. offset
/* (d1,vc1,d0,vc0)=(2,0,3,1) */
_v_add_co_u32 v10, vcc, v0, 25                     // coord0.1: coord0 += d0*sg0*VW + vc0
v_cmp_lt_u32 s[54:55], v10, s[sgprSizeI]           // coord0 < size0
v_cmp_lt_u32 s[58:59], v1, s[sgprSizeJ]            // coord1 < size1
s_and_b64 s[58:59], s[54:55], s[58:59]             // in0 && in1
_v_add_lshl_u32 v14, v2, v10, 0x2                  // scaleToBpe: accumulate d0 lower and *= bpe into Cin addr
v_cndmask_b32 v14, -1, v14, s[58:59]               // LDC clip if OOB. offset
_buffer_load_b32 v15, v14, s[sgprSrdC:sgprSrdC+3], 0, offen offset:0 // load C for beta calc
_v_add_lshl_u32 v14, v3, v10, 0x2                  // scaleToBpe: accumulate d0 lower and *= bpe into Cin addr
v_cndmask_b32 v14, -1, v14, s[58:59]               // LDD clip if OOB. offset
/* (d1,vc1,d0,vc0)=(2,0,3,2) */
_v_add_co_u32 v10, vcc, v0, 26                     // coord0.1: coord0 += d0*sg0*VW + vc0
v_cmp_lt_u32 s[54:55], v10, s[sgprSizeI]           // coord0 < size0
v_cmp_lt_u32 s[58:59], v1, s[sgprSizeJ]            // coord1 < size1
s_and_b64 s[58:59], s[54:55], s[58:59]             // in0 && in1
_v_add_lshl_u32 v17, v2, v10, 0x2                  // scaleToBpe: accumulate d0 lower and *= bpe into Cin addr
v_cndmask_b32 v17, -1, v17, s[58:59]               // LDC clip if OOB. offset
_buffer_load_b32 v18, v17, s[sgprSrdC:sgprSrdC+3], 0, offen offset:0 // load C for beta calc
_v_add_lshl_u32 v17, v3, v10, 0x2                  // scaleToBpe: accumulate d0 lower and *= bpe into Cin addr
v_cndmask_b32 v17, -1, v17, s[58:59]               // LDD clip if OOB. offset
	;; [unrolled: 10-line block ×3, first 2 shown]
v_accvgpr_read_b32 v[vgprValuC+13], acc44 // copy acc to vreg[44]
v_accvgpr_read_b32 v[vgprValuC+16], acc45 // copy acc to vreg[45]
v_accvgpr_read_b32 v[vgprValuC+19], acc46 // copy acc to vreg[46]
v_accvgpr_read_b32 v[vgprValuC+22], acc47 // copy acc to vreg[47]
s_nop 1                                            // 2 wait states required before reading vgpr

/* rC *= alpha batchElements=[(2, 3, 0, 0), (2, 3, 0, 1), (2, 3, 0, 2), (2, 3, 0, 3)] */
v_mul_lo_u32 v[vgprValuC+13], s[sgprAlpha], v[vgprValuC+13] // *= alpha
v_mul_lo_u32 v[vgprValuC+16], s[sgprAlpha], v[vgprValuC+16] // *= alpha
	;; [unrolled: 1-line block ×4, first 2 shown]
s_waitcnt vmcnt(0)                                 // wait C

/* apply mask, calc new C and issue writes */
v_mul_lo_u32 v12, s[sgprBeta], v12                 // C = C*beta
_v_add_u32 v[vgprValuC+13], v12, v[vgprValuC+13]   // finalSum = sum*alpha + C*beta
_ds_store_b32 v7, v13, offset:96                   // storeRemap lw
v_mul_lo_u32 v15, s[sgprBeta], v15                 // C = C*beta
_v_add_u32 v[vgprValuC+16], v15, v[vgprValuC+16]   // finalSum = sum*alpha + C*beta
_ds_store_b32 v7, v16, offset:100                  // storeRemap lw
v_mul_lo_u32 v18, s[sgprBeta], v18                 // C = C*beta
_v_add_u32 v[vgprValuC+19], v18, v[vgprValuC+19]   // finalSum = sum*alpha + C*beta
_ds_store_b32 v7, v19, offset:104                  // storeRemap lw
	;; [unrolled: 3-line block ×3, first 2 shown]

/* Handle local read and global write */
s_waitcnt lgkmcnt(0)                               // wait for LDS write
s_barrier //wait all lds write finished

_ds_load_b128 v[12:15], v8, offset:0               // storeRemap lr
_ds_load_b128 v[16:19], v8, offset:1056            // storeRemap lr
_ds_load_b128 v[20:23], v8, offset:2112            // storeRemap lr
	;; [unrolled: 1-line block ×3, first 2 shown]

s_waitcnt lgkmcnt(3)                               // wait for LDS read
_v_add_u32 v11, v5, 0                              // coord1 += nColPerLoad
_v_add_u32 v10, v4, 0                              // coord0 += element index of load vector
_v_add_u32 v9, v6, 0                               // offset coord1 += nColPerLoad
v_cmp_lt_u32 s[54:55], v10, s[sgprSizeI]           // coord0 < size0
v_cmp_lt_u32 s[56:57], v11, s[sgprSizeJ]           // coord1 < size1
s_and_b64 s[56:57], s[54:55], s[56:57]             // in0 && in1
v_mul_lo_u32 v9, v9, s[sgprStrideD1J]              // coord1 element offset =  coord1 * StrideD
_v_add_lshl_u32 v9, v9, v10, 0x2                   // scale to BPE
v_cndmask_b32 v9, -1, v9, s[56:57]                 // clip if OOB. offset
_buffer_store_b32 v12, v9, s[sgprSrdD:sgprSrdD+3], 0, offen, offset:0 // store D
_v_add_u32 v11, v5, 0                              // coord1 += nColPerLoad
_v_add_u32 v10, v4, 1                              // coord0 += element index of load vector
_v_add_u32 v9, v6, 0                               // offset coord1 += nColPerLoad
v_cmp_lt_u32 s[54:55], v10, s[sgprSizeI]           // coord0 < size0
v_cmp_lt_u32 s[56:57], v11, s[sgprSizeJ]           // coord1 < size1
s_and_b64 s[56:57], s[54:55], s[56:57]             // in0 && in1
v_mul_lo_u32 v9, v9, s[sgprStrideD1J]              // coord1 element offset =  coord1 * StrideD
_v_add_lshl_u32 v9, v9, v10, 0x2                   // scale to BPE
v_cndmask_b32 v9, -1, v9, s[56:57]                 // clip if OOB. offset
_buffer_store_b32 v13, v9, s[sgprSrdD:sgprSrdD+3], 0, offen, offset:0 // store D
_v_add_u32 v11, v5, 0                              // coord1 += nColPerLoad
_v_add_u32 v10, v4, 2                              // coord0 += element index of load vector
_v_add_u32 v9, v6, 0                               // offset coord1 += nColPerLoad
v_cmp_lt_u32 s[54:55], v10, s[sgprSizeI]           // coord0 < size0
v_cmp_lt_u32 s[56:57], v11, s[sgprSizeJ]           // coord1 < size1
s_and_b64 s[56:57], s[54:55], s[56:57]             // in0 && in1
v_mul_lo_u32 v9, v9, s[sgprStrideD1J]              // coord1 element offset =  coord1 * StrideD
_v_add_lshl_u32 v9, v9, v10, 0x2                   // scale to BPE
v_cndmask_b32 v9, -1, v9, s[56:57]                 // clip if OOB. offset
_buffer_store_b32 v14, v9, s[sgprSrdD:sgprSrdD+3], 0, offen, offset:0 // store D
_v_add_u32 v11, v5, 0                              // coord1 += nColPerLoad
_v_add_u32 v10, v4, 3                              // coord0 += element index of load vector
_v_add_u32 v9, v6, 0                               // offset coord1 += nColPerLoad
v_cmp_lt_u32 s[54:55], v10, s[sgprSizeI]           // coord0 < size0
v_cmp_lt_u32 s[56:57], v11, s[sgprSizeJ]           // coord1 < size1
s_and_b64 s[56:57], s[54:55], s[56:57]             // in0 && in1
v_mul_lo_u32 v9, v9, s[sgprStrideD1J]              // coord1 element offset =  coord1 * StrideD
_v_add_lshl_u32 v9, v9, v10, 0x2                   // scale to BPE
v_cndmask_b32 v9, -1, v9, s[56:57]                 // clip if OOB. offset
_buffer_store_b32 v15, v9, s[sgprSrdD:sgprSrdD+3], 0, offen, offset:0 // store D
s_waitcnt lgkmcnt(2)                               // wait for LDS read
_v_add_u32 v11, v5, 2                              // coord1 += nColPerLoad
_v_add_u32 v10, v4, 0                              // coord0 += element index of load vector
_v_add_u32 v9, v6, 2                               // offset coord1 += nColPerLoad
v_cmp_lt_u32 s[54:55], v10, s[sgprSizeI]           // coord0 < size0
v_cmp_lt_u32 s[56:57], v11, s[sgprSizeJ]           // coord1 < size1
s_and_b64 s[56:57], s[54:55], s[56:57]             // in0 && in1
v_mul_lo_u32 v9, v9, s[sgprStrideD1J]              // coord1 element offset =  coord1 * StrideD
_v_add_lshl_u32 v9, v9, v10, 0x2                   // scale to BPE
v_cndmask_b32 v9, -1, v9, s[56:57]                 // clip if OOB. offset
_buffer_store_b32 v16, v9, s[sgprSrdD:sgprSrdD+3], 0, offen, offset:0 // store D
_v_add_u32 v11, v5, 2                              // coord1 += nColPerLoad
_v_add_u32 v10, v4, 1                              // coord0 += element index of load vector
_v_add_u32 v9, v6, 2                               // offset coord1 += nColPerLoad
v_cmp_lt_u32 s[54:55], v10, s[sgprSizeI]           // coord0 < size0
v_cmp_lt_u32 s[56:57], v11, s[sgprSizeJ]           // coord1 < size1
s_and_b64 s[56:57], s[54:55], s[56:57]             // in0 && in1
v_mul_lo_u32 v9, v9, s[sgprStrideD1J]              // coord1 element offset =  coord1 * StrideD
_v_add_lshl_u32 v9, v9, v10, 0x2                   // scale to BPE
v_cndmask_b32 v9, -1, v9, s[56:57]                 // clip if OOB. offset
_buffer_store_b32 v17, v9, s[sgprSrdD:sgprSrdD+3], 0, offen, offset:0 // store D
_v_add_u32 v11, v5, 2                              // coord1 += nColPerLoad
_v_add_u32 v10, v4, 2                              // coord0 += element index of load vector
_v_add_u32 v9, v6, 2                               // offset coord1 += nColPerLoad
v_cmp_lt_u32 s[54:55], v10, s[sgprSizeI]           // coord0 < size0
v_cmp_lt_u32 s[56:57], v11, s[sgprSizeJ]           // coord1 < size1
s_and_b64 s[56:57], s[54:55], s[56:57]             // in0 && in1
v_mul_lo_u32 v9, v9, s[sgprStrideD1J]              // coord1 element offset =  coord1 * StrideD
_v_add_lshl_u32 v9, v9, v10, 0x2                   // scale to BPE
v_cndmask_b32 v9, -1, v9, s[56:57]                 // clip if OOB. offset
_buffer_store_b32 v18, v9, s[sgprSrdD:sgprSrdD+3], 0, offen, offset:0 // store D
_v_add_u32 v11, v5, 2                              // coord1 += nColPerLoad
_v_add_u32 v10, v4, 3                              // coord0 += element index of load vector
_v_add_u32 v9, v6, 2                               // offset coord1 += nColPerLoad
v_cmp_lt_u32 s[54:55], v10, s[sgprSizeI]           // coord0 < size0
v_cmp_lt_u32 s[56:57], v11, s[sgprSizeJ]           // coord1 < size1
s_and_b64 s[56:57], s[54:55], s[56:57]             // in0 && in1
v_mul_lo_u32 v9, v9, s[sgprStrideD1J]              // coord1 element offset =  coord1 * StrideD
_v_add_lshl_u32 v9, v9, v10, 0x2                   // scale to BPE
v_cndmask_b32 v9, -1, v9, s[56:57]                 // clip if OOB. offset
_buffer_store_b32 v19, v9, s[sgprSrdD:sgprSrdD+3], 0, offen, offset:0 // store D
	;; [unrolled: 41-line block ×4, first 2 shown]

s_barrier //wait all lds read finished
s_nop 0                                            // 1 wait state required when next inst writes vgprs held by previous dwordx4 store inst
/* optSingleColVgpr=0 optSharedColVgpr=0 optSGPRUsage=BufferLoad_Edge_Mask optSrdIncForRow=1 */

/******************************************/
/* Global Write Alpha Beta Edge Batch #12 (d1,d0,vc1,vc0) = */
/*    (3,0,0,0:vw1); (3,0,0,1:vw1); (3,0,0,2:vw1); (3,0,0,3:vw1) */
/******************************************/

/* calc coords, apply mask, and issue loads (if necessary) */
/* (d1,vc1,d0,vc0)=(3,0,0,0) */
_v_add_co_u32 v1, vcc, v1, 32                      // coord1.1: coord1Vgpr += d1*sg1*VW + vc1
v_cmp_lt_u32 s[54:55], v0, s[sgprSizeI]            // coord0 < size0
v_cmp_lt_u32 s[58:59], v1, s[sgprSizeJ]            // coord1 < size1
s_and_b64 s[58:59], s[54:55], s[58:59]             // in0 && in1
_v_add_lshl_u32 v9, v2, v0, 0x2                    // scaleToBpe: accumulate d0 lower and *= bpe into Cin addr
v_cndmask_b32 v9, -1, v9, s[58:59]                 // LDC clip if OOB. offset
s_mul_i32 s54, s[sgprStrideC1J], 128               // scale StrideC *= numRows(32) * bpe
s_add_u32  s[sgprSrdC+0], s[sgprSrdC+0], s54       // incToNextRow: gra SRD += inc(lower)
s_addc_u32  s[sgprSrdC+1], s[sgprSrdC+1], 0        // incToNextRow: gra SRD += inc(upper)
_buffer_load_b32 v12, v9, s[sgprSrdC:sgprSrdC+3], 0, offen offset:0 // load C for beta calc
_v_add_lshl_u32 v9, v3, v0, 0x2                    // scaleToBpe: accumulate d0 lower and *= bpe into Cin addr
v_cndmask_b32 v9, -1, v9, s[58:59]                 // LDD clip if OOB. offset
/* (d1,vc1,d0,vc0)=(3,0,0,1) */
_v_add_co_u32 v10, vcc, v0, 1                      // coord0.1: coord0 += d0*sg0*VW + vc0
v_cmp_lt_u32 s[54:55], v10, s[sgprSizeI]           // coord0 < size0
v_cmp_lt_u32 s[58:59], v1, s[sgprSizeJ]            // coord1 < size1
s_and_b64 s[58:59], s[54:55], s[58:59]             // in0 && in1
_v_add_lshl_u32 v14, v2, v10, 0x2                  // scaleToBpe: accumulate d0 lower and *= bpe into Cin addr
v_cndmask_b32 v14, -1, v14, s[58:59]               // LDC clip if OOB. offset
_buffer_load_b32 v15, v14, s[sgprSrdC:sgprSrdC+3], 0, offen offset:0 // load C for beta calc
_v_add_lshl_u32 v14, v3, v10, 0x2                  // scaleToBpe: accumulate d0 lower and *= bpe into Cin addr
v_cndmask_b32 v14, -1, v14, s[58:59]               // LDD clip if OOB. offset
/* (d1,vc1,d0,vc0)=(3,0,0,2) */
_v_add_co_u32 v10, vcc, v0, 2                      // coord0.1: coord0 += d0*sg0*VW + vc0
v_cmp_lt_u32 s[54:55], v10, s[sgprSizeI]           // coord0 < size0
v_cmp_lt_u32 s[58:59], v1, s[sgprSizeJ]            // coord1 < size1
s_and_b64 s[58:59], s[54:55], s[58:59]             // in0 && in1
_v_add_lshl_u32 v17, v2, v10, 0x2                  // scaleToBpe: accumulate d0 lower and *= bpe into Cin addr
v_cndmask_b32 v17, -1, v17, s[58:59]               // LDC clip if OOB. offset
_buffer_load_b32 v18, v17, s[sgprSrdC:sgprSrdC+3], 0, offen offset:0 // load C for beta calc
_v_add_lshl_u32 v17, v3, v10, 0x2                  // scaleToBpe: accumulate d0 lower and *= bpe into Cin addr
v_cndmask_b32 v17, -1, v17, s[58:59]               // LDD clip if OOB. offset
	;; [unrolled: 10-line block ×3, first 2 shown]
v_accvgpr_read_b32 v[vgprValuC+13], acc48 // copy acc to vreg[48]
v_accvgpr_read_b32 v[vgprValuC+16], acc49 // copy acc to vreg[49]
v_accvgpr_read_b32 v[vgprValuC+19], acc50 // copy acc to vreg[50]
v_accvgpr_read_b32 v[vgprValuC+22], acc51 // copy acc to vreg[51]
s_nop 1                                            // 2 wait states required before reading vgpr

/* rC *= alpha batchElements=[(3, 0, 0, 0), (3, 0, 0, 1), (3, 0, 0, 2), (3, 0, 0, 3)] */
v_mul_lo_u32 v[vgprValuC+13], s[sgprAlpha], v[vgprValuC+13] // *= alpha
v_mul_lo_u32 v[vgprValuC+16], s[sgprAlpha], v[vgprValuC+16] // *= alpha
	;; [unrolled: 1-line block ×4, first 2 shown]
s_waitcnt vmcnt(0)                                 // wait C

/* apply mask, calc new C and issue writes */

/* StoreRemap: shift coord1 address */
s_mul_i32 s54, s[sgprStrideD1J], 128               // scale StrideD *= numRows(32) * bpe
s_add_u32  s[sgprSrdD+0], s[sgprSrdD+0], s54       // incToNextRow: gra SRD += inc(lower)
s_addc_u32  s[sgprSrdD+1], s[sgprSrdD+1], 0        // incToNextRow: gra SRD += inc(upper)
v_mov_b32 v10, 32                                  // set shift rows
_v_add_u32 v5, v5, v10                             // shift storeRemap coord1
v_mul_lo_u32 v12, s[sgprBeta], v12                 // C = C*beta
_v_add_u32 v[vgprValuC+13], v12, v[vgprValuC+13]   // finalSum = sum*alpha + C*beta
_ds_store_b32 v7, v13, offset:0                    // storeRemap lw
v_mul_lo_u32 v15, s[sgprBeta], v15                 // C = C*beta
_v_add_u32 v[vgprValuC+16], v15, v[vgprValuC+16]   // finalSum = sum*alpha + C*beta
_ds_store_b32 v7, v16, offset:4                    // storeRemap lw
	;; [unrolled: 3-line block ×3, first 2 shown]
v_mul_lo_u32 v21, s[sgprBeta], v21                 // C = C*beta
_v_add_u32 v[vgprValuC+22], v21, v[vgprValuC+22]   // finalSum = sum*alpha + C*beta
_ds_store_b32 v7, v22, offset:12                   // storeRemap lw
s_nop 0                                            // 1 wait state required when next inst writes vgprs held by previous dwordx4 store inst
/* optSingleColVgpr=0 optSharedColVgpr=0 optSGPRUsage=BufferLoad_Edge_Mask optSrdIncForRow=1 */

/******************************************/
/* Global Write Alpha Beta Edge Batch #13 (d1,d0,vc1,vc0) = */
/*    (3,1,0,0:vw1); (3,1,0,1:vw1); (3,1,0,2:vw1); (3,1,0,3:vw1) */
/******************************************/

/* calc coords, apply mask, and issue loads (if necessary) */
/* (d1,vc1,d0,vc0)=(3,0,1,0) */
_v_add_co_u32 v10, vcc, v0, 8                      // coord0.1: coord0 += d0*sg0*VW + vc0
v_cmp_lt_u32 s[54:55], v10, s[sgprSizeI]           // coord0 < size0
v_cmp_lt_u32 s[58:59], v1, s[sgprSizeJ]            // coord1 < size1
s_and_b64 s[58:59], s[54:55], s[58:59]             // in0 && in1
_v_add_lshl_u32 v9, v2, v10, 0x2                   // scaleToBpe: accumulate d0 lower and *= bpe into Cin addr
v_cndmask_b32 v9, -1, v9, s[58:59]                 // LDC clip if OOB. offset
_buffer_load_b32 v12, v9, s[sgprSrdC:sgprSrdC+3], 0, offen offset:0 // load C for beta calc
_v_add_lshl_u32 v9, v3, v10, 0x2                   // scaleToBpe: accumulate d0 lower and *= bpe into Cin addr
v_cndmask_b32 v9, -1, v9, s[58:59]                 // LDD clip if OOB. offset
/* (d1,vc1,d0,vc0)=(3,0,1,1) */
_v_add_co_u32 v10, vcc, v0, 9                      // coord0.1: coord0 += d0*sg0*VW + vc0
v_cmp_lt_u32 s[54:55], v10, s[sgprSizeI]           // coord0 < size0
v_cmp_lt_u32 s[58:59], v1, s[sgprSizeJ]            // coord1 < size1
s_and_b64 s[58:59], s[54:55], s[58:59]             // in0 && in1
_v_add_lshl_u32 v14, v2, v10, 0x2                  // scaleToBpe: accumulate d0 lower and *= bpe into Cin addr
v_cndmask_b32 v14, -1, v14, s[58:59]               // LDC clip if OOB. offset
_buffer_load_b32 v15, v14, s[sgprSrdC:sgprSrdC+3], 0, offen offset:0 // load C for beta calc
_v_add_lshl_u32 v14, v3, v10, 0x2                  // scaleToBpe: accumulate d0 lower and *= bpe into Cin addr
v_cndmask_b32 v14, -1, v14, s[58:59]               // LDD clip if OOB. offset
/* (d1,vc1,d0,vc0)=(3,0,1,2) */
_v_add_co_u32 v10, vcc, v0, 10                     // coord0.1: coord0 += d0*sg0*VW + vc0
v_cmp_lt_u32 s[54:55], v10, s[sgprSizeI]           // coord0 < size0
v_cmp_lt_u32 s[58:59], v1, s[sgprSizeJ]            // coord1 < size1
s_and_b64 s[58:59], s[54:55], s[58:59]             // in0 && in1
_v_add_lshl_u32 v17, v2, v10, 0x2                  // scaleToBpe: accumulate d0 lower and *= bpe into Cin addr
v_cndmask_b32 v17, -1, v17, s[58:59]               // LDC clip if OOB. offset
_buffer_load_b32 v18, v17, s[sgprSrdC:sgprSrdC+3], 0, offen offset:0 // load C for beta calc
_v_add_lshl_u32 v17, v3, v10, 0x2                  // scaleToBpe: accumulate d0 lower and *= bpe into Cin addr
v_cndmask_b32 v17, -1, v17, s[58:59]               // LDD clip if OOB. offset
/* (d1,vc1,d0,vc0)=(3,0,1,3) */
_v_add_co_u32 v10, vcc, v0, 11                     // coord0.1: coord0 += d0*sg0*VW + vc0
v_cmp_lt_u32 s[54:55], v10, s[sgprSizeI]           // coord0 < size0
v_cmp_lt_u32 s[58:59], v1, s[sgprSizeJ]            // coord1 < size1
s_and_b64 s[58:59], s[54:55], s[58:59]             // in0 && in1
_v_add_lshl_u32 v20, v2, v10, 0x2                  // scaleToBpe: accumulate d0 lower and *= bpe into Cin addr
v_cndmask_b32 v20, -1, v20, s[58:59]               // LDC clip if OOB. offset
_buffer_load_b32 v21, v20, s[sgprSrdC:sgprSrdC+3], 0, offen offset:0 // load C for beta calc
_v_add_lshl_u32 v20, v3, v10, 0x2                  // scaleToBpe: accumulate d0 lower and *= bpe into Cin addr
v_cndmask_b32 v20, -1, v20, s[58:59]               // LDD clip if OOB. offset
v_accvgpr_read_b32 v[vgprValuC+13], acc52 // copy acc to vreg[52]
v_accvgpr_read_b32 v[vgprValuC+16], acc53 // copy acc to vreg[53]
v_accvgpr_read_b32 v[vgprValuC+19], acc54 // copy acc to vreg[54]
v_accvgpr_read_b32 v[vgprValuC+22], acc55 // copy acc to vreg[55]
s_nop 1                                            // 2 wait states required before reading vgpr

/* rC *= alpha batchElements=[(3, 1, 0, 0), (3, 1, 0, 1), (3, 1, 0, 2), (3, 1, 0, 3)] */
v_mul_lo_u32 v[vgprValuC+13], s[sgprAlpha], v[vgprValuC+13] // *= alpha
v_mul_lo_u32 v[vgprValuC+16], s[sgprAlpha], v[vgprValuC+16] // *= alpha
	;; [unrolled: 1-line block ×4, first 2 shown]
s_waitcnt vmcnt(0)                                 // wait C

/* apply mask, calc new C and issue writes */
v_mul_lo_u32 v12, s[sgprBeta], v12                 // C = C*beta
_v_add_u32 v[vgprValuC+13], v12, v[vgprValuC+13]   // finalSum = sum*alpha + C*beta
_ds_store_b32 v7, v13, offset:32                   // storeRemap lw
v_mul_lo_u32 v15, s[sgprBeta], v15                 // C = C*beta
_v_add_u32 v[vgprValuC+16], v15, v[vgprValuC+16]   // finalSum = sum*alpha + C*beta
_ds_store_b32 v7, v16, offset:36                   // storeRemap lw
v_mul_lo_u32 v18, s[sgprBeta], v18                 // C = C*beta
_v_add_u32 v[vgprValuC+19], v18, v[vgprValuC+19]   // finalSum = sum*alpha + C*beta
_ds_store_b32 v7, v19, offset:40                   // storeRemap lw
v_mul_lo_u32 v21, s[sgprBeta], v21                 // C = C*beta
_v_add_u32 v[vgprValuC+22], v21, v[vgprValuC+22]   // finalSum = sum*alpha + C*beta
_ds_store_b32 v7, v22, offset:44                   // storeRemap lw
s_nop 0                                            // 1 wait state required when next inst writes vgprs held by previous dwordx4 store inst
/* optSingleColVgpr=0 optSharedColVgpr=0 optSGPRUsage=BufferLoad_Edge_Mask optSrdIncForRow=1 */

/******************************************/
/* Global Write Alpha Beta Edge Batch #14 (d1,d0,vc1,vc0) = */
/*    (3,2,0,0:vw1); (3,2,0,1:vw1); (3,2,0,2:vw1); (3,2,0,3:vw1) */
/******************************************/

/* calc coords, apply mask, and issue loads (if necessary) */
/* (d1,vc1,d0,vc0)=(3,0,2,0) */
_v_add_co_u32 v10, vcc, v0, 16                     // coord0.1: coord0 += d0*sg0*VW + vc0
v_cmp_lt_u32 s[54:55], v10, s[sgprSizeI]           // coord0 < size0
v_cmp_lt_u32 s[58:59], v1, s[sgprSizeJ]            // coord1 < size1
s_and_b64 s[58:59], s[54:55], s[58:59]             // in0 && in1
_v_add_lshl_u32 v9, v2, v10, 0x2                   // scaleToBpe: accumulate d0 lower and *= bpe into Cin addr
v_cndmask_b32 v9, -1, v9, s[58:59]                 // LDC clip if OOB. offset
_buffer_load_b32 v12, v9, s[sgprSrdC:sgprSrdC+3], 0, offen offset:0 // load C for beta calc
_v_add_lshl_u32 v9, v3, v10, 0x2                   // scaleToBpe: accumulate d0 lower and *= bpe into Cin addr
v_cndmask_b32 v9, -1, v9, s[58:59]                 // LDD clip if OOB. offset
/* (d1,vc1,d0,vc0)=(3,0,2,1) */
_v_add_co_u32 v10, vcc, v0, 17                     // coord0.1: coord0 += d0*sg0*VW + vc0
v_cmp_lt_u32 s[54:55], v10, s[sgprSizeI]           // coord0 < size0
v_cmp_lt_u32 s[58:59], v1, s[sgprSizeJ]            // coord1 < size1
s_and_b64 s[58:59], s[54:55], s[58:59]             // in0 && in1
_v_add_lshl_u32 v14, v2, v10, 0x2                  // scaleToBpe: accumulate d0 lower and *= bpe into Cin addr
v_cndmask_b32 v14, -1, v14, s[58:59]               // LDC clip if OOB. offset
_buffer_load_b32 v15, v14, s[sgprSrdC:sgprSrdC+3], 0, offen offset:0 // load C for beta calc
_v_add_lshl_u32 v14, v3, v10, 0x2                  // scaleToBpe: accumulate d0 lower and *= bpe into Cin addr
v_cndmask_b32 v14, -1, v14, s[58:59]               // LDD clip if OOB. offset
/* (d1,vc1,d0,vc0)=(3,0,2,2) */
_v_add_co_u32 v10, vcc, v0, 18                     // coord0.1: coord0 += d0*sg0*VW + vc0
v_cmp_lt_u32 s[54:55], v10, s[sgprSizeI]           // coord0 < size0
v_cmp_lt_u32 s[58:59], v1, s[sgprSizeJ]            // coord1 < size1
s_and_b64 s[58:59], s[54:55], s[58:59]             // in0 && in1
_v_add_lshl_u32 v17, v2, v10, 0x2                  // scaleToBpe: accumulate d0 lower and *= bpe into Cin addr
v_cndmask_b32 v17, -1, v17, s[58:59]               // LDC clip if OOB. offset
_buffer_load_b32 v18, v17, s[sgprSrdC:sgprSrdC+3], 0, offen offset:0 // load C for beta calc
_v_add_lshl_u32 v17, v3, v10, 0x2                  // scaleToBpe: accumulate d0 lower and *= bpe into Cin addr
v_cndmask_b32 v17, -1, v17, s[58:59]               // LDD clip if OOB. offset
	;; [unrolled: 10-line block ×3, first 2 shown]
v_accvgpr_read_b32 v[vgprValuC+13], acc56 // copy acc to vreg[56]
v_accvgpr_read_b32 v[vgprValuC+16], acc57 // copy acc to vreg[57]
v_accvgpr_read_b32 v[vgprValuC+19], acc58 // copy acc to vreg[58]
v_accvgpr_read_b32 v[vgprValuC+22], acc59 // copy acc to vreg[59]
s_nop 1                                            // 2 wait states required before reading vgpr

/* rC *= alpha batchElements=[(3, 2, 0, 0), (3, 2, 0, 1), (3, 2, 0, 2), (3, 2, 0, 3)] */
v_mul_lo_u32 v[vgprValuC+13], s[sgprAlpha], v[vgprValuC+13] // *= alpha
v_mul_lo_u32 v[vgprValuC+16], s[sgprAlpha], v[vgprValuC+16] // *= alpha
	;; [unrolled: 1-line block ×4, first 2 shown]
s_waitcnt vmcnt(0)                                 // wait C

/* apply mask, calc new C and issue writes */
v_mul_lo_u32 v12, s[sgprBeta], v12                 // C = C*beta
_v_add_u32 v[vgprValuC+13], v12, v[vgprValuC+13]   // finalSum = sum*alpha + C*beta
_ds_store_b32 v7, v13, offset:64                   // storeRemap lw
v_mul_lo_u32 v15, s[sgprBeta], v15                 // C = C*beta
_v_add_u32 v[vgprValuC+16], v15, v[vgprValuC+16]   // finalSum = sum*alpha + C*beta
_ds_store_b32 v7, v16, offset:68                   // storeRemap lw
	;; [unrolled: 3-line block ×4, first 2 shown]
s_nop 0                                            // 1 wait state required when next inst writes vgprs held by previous dwordx4 store inst
/* optSingleColVgpr=0 optSharedColVgpr=0 optSGPRUsage=BufferLoad_Edge_Mask optSrdIncForRow=1 */

/******************************************/
/* Global Write Alpha Beta Edge Batch #15 (d1,d0,vc1,vc0) = */
/*    (3,3,0,0:vw1); (3,3,0,1:vw1); (3,3,0,2:vw1); (3,3,0,3:vw1) */
/******************************************/

/* calc coords, apply mask, and issue loads (if necessary) */
/* (d1,vc1,d0,vc0)=(3,0,3,0) */
_v_add_co_u32 v10, vcc, v0, 24                     // coord0.1: coord0 += d0*sg0*VW + vc0
v_cmp_lt_u32 s[54:55], v10, s[sgprSizeI]           // coord0 < size0
v_cmp_lt_u32 s[58:59], v1, s[sgprSizeJ]            // coord1 < size1
s_and_b64 s[58:59], s[54:55], s[58:59]             // in0 && in1
_v_add_lshl_u32 v9, v2, v10, 0x2                   // scaleToBpe: accumulate d0 lower and *= bpe into Cin addr
v_cndmask_b32 v9, -1, v9, s[58:59]                 // LDC clip if OOB. offset
_buffer_load_b32 v12, v9, s[sgprSrdC:sgprSrdC+3], 0, offen offset:0 // load C for beta calc
_v_add_lshl_u32 v9, v3, v10, 0x2                   // scaleToBpe: accumulate d0 lower and *= bpe into Cin addr
v_cndmask_b32 v9, -1, v9, s[58:59]                 // LDD clip if OOB. offset
/* (d1,vc1,d0,vc0)=(3,0,3,1) */
_v_add_co_u32 v10, vcc, v0, 25                     // coord0.1: coord0 += d0*sg0*VW + vc0
v_cmp_lt_u32 s[54:55], v10, s[sgprSizeI]           // coord0 < size0
v_cmp_lt_u32 s[58:59], v1, s[sgprSizeJ]            // coord1 < size1
s_and_b64 s[58:59], s[54:55], s[58:59]             // in0 && in1
_v_add_lshl_u32 v14, v2, v10, 0x2                  // scaleToBpe: accumulate d0 lower and *= bpe into Cin addr
v_cndmask_b32 v14, -1, v14, s[58:59]               // LDC clip if OOB. offset
_buffer_load_b32 v15, v14, s[sgprSrdC:sgprSrdC+3], 0, offen offset:0 // load C for beta calc
_v_add_lshl_u32 v14, v3, v10, 0x2                  // scaleToBpe: accumulate d0 lower and *= bpe into Cin addr
v_cndmask_b32 v14, -1, v14, s[58:59]               // LDD clip if OOB. offset
/* (d1,vc1,d0,vc0)=(3,0,3,2) */
_v_add_co_u32 v10, vcc, v0, 26                     // coord0.1: coord0 += d0*sg0*VW + vc0
v_cmp_lt_u32 s[54:55], v10, s[sgprSizeI]           // coord0 < size0
v_cmp_lt_u32 s[58:59], v1, s[sgprSizeJ]            // coord1 < size1
s_and_b64 s[58:59], s[54:55], s[58:59]             // in0 && in1
_v_add_lshl_u32 v17, v2, v10, 0x2                  // scaleToBpe: accumulate d0 lower and *= bpe into Cin addr
v_cndmask_b32 v17, -1, v17, s[58:59]               // LDC clip if OOB. offset
_buffer_load_b32 v18, v17, s[sgprSrdC:sgprSrdC+3], 0, offen offset:0 // load C for beta calc
_v_add_lshl_u32 v17, v3, v10, 0x2                  // scaleToBpe: accumulate d0 lower and *= bpe into Cin addr
v_cndmask_b32 v17, -1, v17, s[58:59]               // LDD clip if OOB. offset
	;; [unrolled: 10-line block ×3, first 2 shown]
v_accvgpr_read_b32 v[vgprValuC+13], acc60 // copy acc to vreg[60]
v_accvgpr_read_b32 v[vgprValuC+16], acc61 // copy acc to vreg[61]
v_accvgpr_read_b32 v[vgprValuC+19], acc62 // copy acc to vreg[62]
v_accvgpr_read_b32 v[vgprValuC+22], acc63 // copy acc to vreg[63]
s_nop 1                                            // 2 wait states required before reading vgpr

/* rC *= alpha batchElements=[(3, 3, 0, 0), (3, 3, 0, 1), (3, 3, 0, 2), (3, 3, 0, 3)] */
v_mul_lo_u32 v[vgprValuC+13], s[sgprAlpha], v[vgprValuC+13] // *= alpha
v_mul_lo_u32 v[vgprValuC+16], s[sgprAlpha], v[vgprValuC+16] // *= alpha
	;; [unrolled: 1-line block ×4, first 2 shown]
s_waitcnt vmcnt(0)                                 // wait C

/* apply mask, calc new C and issue writes */
v_mul_lo_u32 v12, s[sgprBeta], v12                 // C = C*beta
_v_add_u32 v[vgprValuC+13], v12, v[vgprValuC+13]   // finalSum = sum*alpha + C*beta
_ds_store_b32 v7, v13, offset:96                   // storeRemap lw
v_mul_lo_u32 v15, s[sgprBeta], v15                 // C = C*beta
_v_add_u32 v[vgprValuC+16], v15, v[vgprValuC+16]   // finalSum = sum*alpha + C*beta
_ds_store_b32 v7, v16, offset:100                  // storeRemap lw
v_mul_lo_u32 v18, s[sgprBeta], v18                 // C = C*beta
_v_add_u32 v[vgprValuC+19], v18, v[vgprValuC+19]   // finalSum = sum*alpha + C*beta
_ds_store_b32 v7, v19, offset:104                  // storeRemap lw
v_mul_lo_u32 v21, s[sgprBeta], v21                 // C = C*beta
_v_add_u32 v[vgprValuC+22], v21, v[vgprValuC+22]   // finalSum = sum*alpha + C*beta
_ds_store_b32 v7, v22, offset:108                  // storeRemap lw

/* Handle local read and global write */
s_waitcnt lgkmcnt(0)                               // wait for LDS write
s_barrier //wait all lds write finished

_ds_load_b128 v[12:15], v8, offset:0               // storeRemap lr
_ds_load_b128 v[16:19], v8, offset:1056            // storeRemap lr
_ds_load_b128 v[20:23], v8, offset:2112            // storeRemap lr
	;; [unrolled: 1-line block ×3, first 2 shown]

s_waitcnt lgkmcnt(3)                               // wait for LDS read
_v_add_u32 v11, v5, 0                              // coord1 += nColPerLoad
_v_add_u32 v10, v4, 0                              // coord0 += element index of load vector
_v_add_u32 v9, v6, 0                               // offset coord1 += nColPerLoad
v_cmp_lt_u32 s[54:55], v10, s[sgprSizeI]           // coord0 < size0
v_cmp_lt_u32 s[56:57], v11, s[sgprSizeJ]           // coord1 < size1
s_and_b64 s[56:57], s[54:55], s[56:57]             // in0 && in1
v_mul_lo_u32 v9, v9, s[sgprStrideD1J]              // coord1 element offset =  coord1 * StrideD
_v_add_lshl_u32 v9, v9, v10, 0x2                   // scale to BPE
v_cndmask_b32 v9, -1, v9, s[56:57]                 // clip if OOB. offset
_buffer_store_b32 v12, v9, s[sgprSrdD:sgprSrdD+3], 0, offen, offset:0 // store D
_v_add_u32 v11, v5, 0                              // coord1 += nColPerLoad
_v_add_u32 v10, v4, 1                              // coord0 += element index of load vector
_v_add_u32 v9, v6, 0                               // offset coord1 += nColPerLoad
v_cmp_lt_u32 s[54:55], v10, s[sgprSizeI]           // coord0 < size0
v_cmp_lt_u32 s[56:57], v11, s[sgprSizeJ]           // coord1 < size1
s_and_b64 s[56:57], s[54:55], s[56:57]             // in0 && in1
v_mul_lo_u32 v9, v9, s[sgprStrideD1J]              // coord1 element offset =  coord1 * StrideD
_v_add_lshl_u32 v9, v9, v10, 0x2                   // scale to BPE
v_cndmask_b32 v9, -1, v9, s[56:57]                 // clip if OOB. offset
_buffer_store_b32 v13, v9, s[sgprSrdD:sgprSrdD+3], 0, offen, offset:0 // store D
_v_add_u32 v11, v5, 0                              // coord1 += nColPerLoad
_v_add_u32 v10, v4, 2                              // coord0 += element index of load vector
_v_add_u32 v9, v6, 0                               // offset coord1 += nColPerLoad
v_cmp_lt_u32 s[54:55], v10, s[sgprSizeI]           // coord0 < size0
v_cmp_lt_u32 s[56:57], v11, s[sgprSizeJ]           // coord1 < size1
s_and_b64 s[56:57], s[54:55], s[56:57]             // in0 && in1
v_mul_lo_u32 v9, v9, s[sgprStrideD1J]              // coord1 element offset =  coord1 * StrideD
_v_add_lshl_u32 v9, v9, v10, 0x2                   // scale to BPE
v_cndmask_b32 v9, -1, v9, s[56:57]                 // clip if OOB. offset
_buffer_store_b32 v14, v9, s[sgprSrdD:sgprSrdD+3], 0, offen, offset:0 // store D
_v_add_u32 v11, v5, 0                              // coord1 += nColPerLoad
_v_add_u32 v10, v4, 3                              // coord0 += element index of load vector
_v_add_u32 v9, v6, 0                               // offset coord1 += nColPerLoad
v_cmp_lt_u32 s[54:55], v10, s[sgprSizeI]           // coord0 < size0
v_cmp_lt_u32 s[56:57], v11, s[sgprSizeJ]           // coord1 < size1
s_and_b64 s[56:57], s[54:55], s[56:57]             // in0 && in1
v_mul_lo_u32 v9, v9, s[sgprStrideD1J]              // coord1 element offset =  coord1 * StrideD
_v_add_lshl_u32 v9, v9, v10, 0x2                   // scale to BPE
v_cndmask_b32 v9, -1, v9, s[56:57]                 // clip if OOB. offset
_buffer_store_b32 v15, v9, s[sgprSrdD:sgprSrdD+3], 0, offen, offset:0 // store D
s_waitcnt lgkmcnt(2)                               // wait for LDS read
_v_add_u32 v11, v5, 2                              // coord1 += nColPerLoad
_v_add_u32 v10, v4, 0                              // coord0 += element index of load vector
_v_add_u32 v9, v6, 2                               // offset coord1 += nColPerLoad
v_cmp_lt_u32 s[54:55], v10, s[sgprSizeI]           // coord0 < size0
v_cmp_lt_u32 s[56:57], v11, s[sgprSizeJ]           // coord1 < size1
s_and_b64 s[56:57], s[54:55], s[56:57]             // in0 && in1
v_mul_lo_u32 v9, v9, s[sgprStrideD1J]              // coord1 element offset =  coord1 * StrideD
_v_add_lshl_u32 v9, v9, v10, 0x2                   // scale to BPE
v_cndmask_b32 v9, -1, v9, s[56:57]                 // clip if OOB. offset
_buffer_store_b32 v16, v9, s[sgprSrdD:sgprSrdD+3], 0, offen, offset:0 // store D
_v_add_u32 v11, v5, 2                              // coord1 += nColPerLoad
_v_add_u32 v10, v4, 1                              // coord0 += element index of load vector
_v_add_u32 v9, v6, 2                               // offset coord1 += nColPerLoad
v_cmp_lt_u32 s[54:55], v10, s[sgprSizeI]           // coord0 < size0
v_cmp_lt_u32 s[56:57], v11, s[sgprSizeJ]           // coord1 < size1
s_and_b64 s[56:57], s[54:55], s[56:57]             // in0 && in1
v_mul_lo_u32 v9, v9, s[sgprStrideD1J]              // coord1 element offset =  coord1 * StrideD
_v_add_lshl_u32 v9, v9, v10, 0x2                   // scale to BPE
v_cndmask_b32 v9, -1, v9, s[56:57]                 // clip if OOB. offset
_buffer_store_b32 v17, v9, s[sgprSrdD:sgprSrdD+3], 0, offen, offset:0 // store D
_v_add_u32 v11, v5, 2                              // coord1 += nColPerLoad
_v_add_u32 v10, v4, 2                              // coord0 += element index of load vector
_v_add_u32 v9, v6, 2                               // offset coord1 += nColPerLoad
v_cmp_lt_u32 s[54:55], v10, s[sgprSizeI]           // coord0 < size0
v_cmp_lt_u32 s[56:57], v11, s[sgprSizeJ]           // coord1 < size1
s_and_b64 s[56:57], s[54:55], s[56:57]             // in0 && in1
v_mul_lo_u32 v9, v9, s[sgprStrideD1J]              // coord1 element offset =  coord1 * StrideD
_v_add_lshl_u32 v9, v9, v10, 0x2                   // scale to BPE
v_cndmask_b32 v9, -1, v9, s[56:57]                 // clip if OOB. offset
_buffer_store_b32 v18, v9, s[sgprSrdD:sgprSrdD+3], 0, offen, offset:0 // store D
_v_add_u32 v11, v5, 2                              // coord1 += nColPerLoad
_v_add_u32 v10, v4, 3                              // coord0 += element index of load vector
_v_add_u32 v9, v6, 2                               // offset coord1 += nColPerLoad
v_cmp_lt_u32 s[54:55], v10, s[sgprSizeI]           // coord0 < size0
v_cmp_lt_u32 s[56:57], v11, s[sgprSizeJ]           // coord1 < size1
s_and_b64 s[56:57], s[54:55], s[56:57]             // in0 && in1
v_mul_lo_u32 v9, v9, s[sgprStrideD1J]              // coord1 element offset =  coord1 * StrideD
_v_add_lshl_u32 v9, v9, v10, 0x2                   // scale to BPE
v_cndmask_b32 v9, -1, v9, s[56:57]                 // clip if OOB. offset
_buffer_store_b32 v19, v9, s[sgprSrdD:sgprSrdD+3], 0, offen, offset:0 // store D
	;; [unrolled: 41-line block ×4, first 2 shown]

s_barrier //wait all lds read finished
s_nop 0                                            // 1 wait state required when next inst writes vgprs held by previous dwordx4 store inst
/* optSingleColVgpr=0 optSharedColVgpr=0 optSGPRUsage=BufferLoad_Edge_Mask optSrdIncForRow=1 */

/******************************************/
/* Global Write Alpha Beta Edge Batch #16 (d1,d0,vc1,vc0) = */
/*    (4,0,0,0:vw1); (4,0,0,1:vw1); (4,0,0,2:vw1); (4,0,0,3:vw1) */
/******************************************/

/* calc coords, apply mask, and issue loads (if necessary) */
/* (d1,vc1,d0,vc0)=(4,0,0,0) */
_v_add_co_u32 v1, vcc, v1, 32                      // coord1.1: coord1Vgpr += d1*sg1*VW + vc1
v_cmp_lt_u32 s[54:55], v0, s[sgprSizeI]            // coord0 < size0
v_cmp_lt_u32 s[58:59], v1, s[sgprSizeJ]            // coord1 < size1
s_and_b64 s[58:59], s[54:55], s[58:59]             // in0 && in1
_v_add_lshl_u32 v9, v2, v0, 0x2                    // scaleToBpe: accumulate d0 lower and *= bpe into Cin addr
v_cndmask_b32 v9, -1, v9, s[58:59]                 // LDC clip if OOB. offset
s_mul_i32 s54, s[sgprStrideC1J], 128               // scale StrideC *= numRows(32) * bpe
s_add_u32  s[sgprSrdC+0], s[sgprSrdC+0], s54       // incToNextRow: gra SRD += inc(lower)
s_addc_u32  s[sgprSrdC+1], s[sgprSrdC+1], 0        // incToNextRow: gra SRD += inc(upper)
_buffer_load_b32 v12, v9, s[sgprSrdC:sgprSrdC+3], 0, offen offset:0 // load C for beta calc
_v_add_lshl_u32 v9, v3, v0, 0x2                    // scaleToBpe: accumulate d0 lower and *= bpe into Cin addr
v_cndmask_b32 v9, -1, v9, s[58:59]                 // LDD clip if OOB. offset
/* (d1,vc1,d0,vc0)=(4,0,0,1) */
_v_add_co_u32 v10, vcc, v0, 1                      // coord0.1: coord0 += d0*sg0*VW + vc0
v_cmp_lt_u32 s[54:55], v10, s[sgprSizeI]           // coord0 < size0
v_cmp_lt_u32 s[58:59], v1, s[sgprSizeJ]            // coord1 < size1
s_and_b64 s[58:59], s[54:55], s[58:59]             // in0 && in1
_v_add_lshl_u32 v14, v2, v10, 0x2                  // scaleToBpe: accumulate d0 lower and *= bpe into Cin addr
v_cndmask_b32 v14, -1, v14, s[58:59]               // LDC clip if OOB. offset
_buffer_load_b32 v15, v14, s[sgprSrdC:sgprSrdC+3], 0, offen offset:0 // load C for beta calc
_v_add_lshl_u32 v14, v3, v10, 0x2                  // scaleToBpe: accumulate d0 lower and *= bpe into Cin addr
v_cndmask_b32 v14, -1, v14, s[58:59]               // LDD clip if OOB. offset
/* (d1,vc1,d0,vc0)=(4,0,0,2) */
_v_add_co_u32 v10, vcc, v0, 2                      // coord0.1: coord0 += d0*sg0*VW + vc0
v_cmp_lt_u32 s[54:55], v10, s[sgprSizeI]           // coord0 < size0
v_cmp_lt_u32 s[58:59], v1, s[sgprSizeJ]            // coord1 < size1
s_and_b64 s[58:59], s[54:55], s[58:59]             // in0 && in1
_v_add_lshl_u32 v17, v2, v10, 0x2                  // scaleToBpe: accumulate d0 lower and *= bpe into Cin addr
v_cndmask_b32 v17, -1, v17, s[58:59]               // LDC clip if OOB. offset
_buffer_load_b32 v18, v17, s[sgprSrdC:sgprSrdC+3], 0, offen offset:0 // load C for beta calc
_v_add_lshl_u32 v17, v3, v10, 0x2                  // scaleToBpe: accumulate d0 lower and *= bpe into Cin addr
v_cndmask_b32 v17, -1, v17, s[58:59]               // LDD clip if OOB. offset
	;; [unrolled: 10-line block ×3, first 2 shown]
v_accvgpr_read_b32 v[vgprValuC+13], acc64 // copy acc to vreg[64]
v_accvgpr_read_b32 v[vgprValuC+16], acc65 // copy acc to vreg[65]
v_accvgpr_read_b32 v[vgprValuC+19], acc66 // copy acc to vreg[66]
v_accvgpr_read_b32 v[vgprValuC+22], acc67 // copy acc to vreg[67]
s_nop 1                                            // 2 wait states required before reading vgpr

/* rC *= alpha batchElements=[(4, 0, 0, 0), (4, 0, 0, 1), (4, 0, 0, 2), (4, 0, 0, 3)] */
v_mul_lo_u32 v[vgprValuC+13], s[sgprAlpha], v[vgprValuC+13] // *= alpha
v_mul_lo_u32 v[vgprValuC+16], s[sgprAlpha], v[vgprValuC+16] // *= alpha
	;; [unrolled: 1-line block ×4, first 2 shown]
s_waitcnt vmcnt(0)                                 // wait C

/* apply mask, calc new C and issue writes */

/* StoreRemap: shift coord1 address */
s_mul_i32 s54, s[sgprStrideD1J], 128               // scale StrideD *= numRows(32) * bpe
s_add_u32  s[sgprSrdD+0], s[sgprSrdD+0], s54       // incToNextRow: gra SRD += inc(lower)
s_addc_u32  s[sgprSrdD+1], s[sgprSrdD+1], 0        // incToNextRow: gra SRD += inc(upper)
v_mov_b32 v10, 32                                  // set shift rows
_v_add_u32 v5, v5, v10                             // shift storeRemap coord1
v_mul_lo_u32 v12, s[sgprBeta], v12                 // C = C*beta
_v_add_u32 v[vgprValuC+13], v12, v[vgprValuC+13]   // finalSum = sum*alpha + C*beta
_ds_store_b32 v7, v13, offset:0                    // storeRemap lw
v_mul_lo_u32 v15, s[sgprBeta], v15                 // C = C*beta
_v_add_u32 v[vgprValuC+16], v15, v[vgprValuC+16]   // finalSum = sum*alpha + C*beta
_ds_store_b32 v7, v16, offset:4                    // storeRemap lw
	;; [unrolled: 3-line block ×3, first 2 shown]
v_mul_lo_u32 v21, s[sgprBeta], v21                 // C = C*beta
_v_add_u32 v[vgprValuC+22], v21, v[vgprValuC+22]   // finalSum = sum*alpha + C*beta
_ds_store_b32 v7, v22, offset:12                   // storeRemap lw
s_nop 0                                            // 1 wait state required when next inst writes vgprs held by previous dwordx4 store inst
/* optSingleColVgpr=0 optSharedColVgpr=0 optSGPRUsage=BufferLoad_Edge_Mask optSrdIncForRow=1 */

/******************************************/
/* Global Write Alpha Beta Edge Batch #17 (d1,d0,vc1,vc0) = */
/*    (4,1,0,0:vw1); (4,1,0,1:vw1); (4,1,0,2:vw1); (4,1,0,3:vw1) */
/******************************************/

/* calc coords, apply mask, and issue loads (if necessary) */
/* (d1,vc1,d0,vc0)=(4,0,1,0) */
_v_add_co_u32 v10, vcc, v0, 8                      // coord0.1: coord0 += d0*sg0*VW + vc0
v_cmp_lt_u32 s[54:55], v10, s[sgprSizeI]           // coord0 < size0
v_cmp_lt_u32 s[58:59], v1, s[sgprSizeJ]            // coord1 < size1
s_and_b64 s[58:59], s[54:55], s[58:59]             // in0 && in1
_v_add_lshl_u32 v9, v2, v10, 0x2                   // scaleToBpe: accumulate d0 lower and *= bpe into Cin addr
v_cndmask_b32 v9, -1, v9, s[58:59]                 // LDC clip if OOB. offset
_buffer_load_b32 v12, v9, s[sgprSrdC:sgprSrdC+3], 0, offen offset:0 // load C for beta calc
_v_add_lshl_u32 v9, v3, v10, 0x2                   // scaleToBpe: accumulate d0 lower and *= bpe into Cin addr
v_cndmask_b32 v9, -1, v9, s[58:59]                 // LDD clip if OOB. offset
/* (d1,vc1,d0,vc0)=(4,0,1,1) */
_v_add_co_u32 v10, vcc, v0, 9                      // coord0.1: coord0 += d0*sg0*VW + vc0
v_cmp_lt_u32 s[54:55], v10, s[sgprSizeI]           // coord0 < size0
v_cmp_lt_u32 s[58:59], v1, s[sgprSizeJ]            // coord1 < size1
s_and_b64 s[58:59], s[54:55], s[58:59]             // in0 && in1
_v_add_lshl_u32 v14, v2, v10, 0x2                  // scaleToBpe: accumulate d0 lower and *= bpe into Cin addr
v_cndmask_b32 v14, -1, v14, s[58:59]               // LDC clip if OOB. offset
_buffer_load_b32 v15, v14, s[sgprSrdC:sgprSrdC+3], 0, offen offset:0 // load C for beta calc
_v_add_lshl_u32 v14, v3, v10, 0x2                  // scaleToBpe: accumulate d0 lower and *= bpe into Cin addr
v_cndmask_b32 v14, -1, v14, s[58:59]               // LDD clip if OOB. offset
/* (d1,vc1,d0,vc0)=(4,0,1,2) */
_v_add_co_u32 v10, vcc, v0, 10                     // coord0.1: coord0 += d0*sg0*VW + vc0
v_cmp_lt_u32 s[54:55], v10, s[sgprSizeI]           // coord0 < size0
v_cmp_lt_u32 s[58:59], v1, s[sgprSizeJ]            // coord1 < size1
s_and_b64 s[58:59], s[54:55], s[58:59]             // in0 && in1
_v_add_lshl_u32 v17, v2, v10, 0x2                  // scaleToBpe: accumulate d0 lower and *= bpe into Cin addr
v_cndmask_b32 v17, -1, v17, s[58:59]               // LDC clip if OOB. offset
_buffer_load_b32 v18, v17, s[sgprSrdC:sgprSrdC+3], 0, offen offset:0 // load C for beta calc
_v_add_lshl_u32 v17, v3, v10, 0x2                  // scaleToBpe: accumulate d0 lower and *= bpe into Cin addr
v_cndmask_b32 v17, -1, v17, s[58:59]               // LDD clip if OOB. offset
/* (d1,vc1,d0,vc0)=(4,0,1,3) */
_v_add_co_u32 v10, vcc, v0, 11                     // coord0.1: coord0 += d0*sg0*VW + vc0
v_cmp_lt_u32 s[54:55], v10, s[sgprSizeI]           // coord0 < size0
v_cmp_lt_u32 s[58:59], v1, s[sgprSizeJ]            // coord1 < size1
s_and_b64 s[58:59], s[54:55], s[58:59]             // in0 && in1
_v_add_lshl_u32 v20, v2, v10, 0x2                  // scaleToBpe: accumulate d0 lower and *= bpe into Cin addr
v_cndmask_b32 v20, -1, v20, s[58:59]               // LDC clip if OOB. offset
_buffer_load_b32 v21, v20, s[sgprSrdC:sgprSrdC+3], 0, offen offset:0 // load C for beta calc
_v_add_lshl_u32 v20, v3, v10, 0x2                  // scaleToBpe: accumulate d0 lower and *= bpe into Cin addr
v_cndmask_b32 v20, -1, v20, s[58:59]               // LDD clip if OOB. offset
v_accvgpr_read_b32 v[vgprValuC+13], acc68 // copy acc to vreg[68]
v_accvgpr_read_b32 v[vgprValuC+16], acc69 // copy acc to vreg[69]
v_accvgpr_read_b32 v[vgprValuC+19], acc70 // copy acc to vreg[70]
v_accvgpr_read_b32 v[vgprValuC+22], acc71 // copy acc to vreg[71]
s_nop 1                                            // 2 wait states required before reading vgpr

/* rC *= alpha batchElements=[(4, 1, 0, 0), (4, 1, 0, 1), (4, 1, 0, 2), (4, 1, 0, 3)] */
v_mul_lo_u32 v[vgprValuC+13], s[sgprAlpha], v[vgprValuC+13] // *= alpha
v_mul_lo_u32 v[vgprValuC+16], s[sgprAlpha], v[vgprValuC+16] // *= alpha
	;; [unrolled: 1-line block ×4, first 2 shown]
s_waitcnt vmcnt(0)                                 // wait C

/* apply mask, calc new C and issue writes */
v_mul_lo_u32 v12, s[sgprBeta], v12                 // C = C*beta
_v_add_u32 v[vgprValuC+13], v12, v[vgprValuC+13]   // finalSum = sum*alpha + C*beta
_ds_store_b32 v7, v13, offset:32                   // storeRemap lw
v_mul_lo_u32 v15, s[sgprBeta], v15                 // C = C*beta
_v_add_u32 v[vgprValuC+16], v15, v[vgprValuC+16]   // finalSum = sum*alpha + C*beta
_ds_store_b32 v7, v16, offset:36                   // storeRemap lw
v_mul_lo_u32 v18, s[sgprBeta], v18                 // C = C*beta
_v_add_u32 v[vgprValuC+19], v18, v[vgprValuC+19]   // finalSum = sum*alpha + C*beta
_ds_store_b32 v7, v19, offset:40                   // storeRemap lw
v_mul_lo_u32 v21, s[sgprBeta], v21                 // C = C*beta
_v_add_u32 v[vgprValuC+22], v21, v[vgprValuC+22]   // finalSum = sum*alpha + C*beta
_ds_store_b32 v7, v22, offset:44                   // storeRemap lw
s_nop 0                                            // 1 wait state required when next inst writes vgprs held by previous dwordx4 store inst
/* optSingleColVgpr=0 optSharedColVgpr=0 optSGPRUsage=BufferLoad_Edge_Mask optSrdIncForRow=1 */

/******************************************/
/* Global Write Alpha Beta Edge Batch #18 (d1,d0,vc1,vc0) = */
/*    (4,2,0,0:vw1); (4,2,0,1:vw1); (4,2,0,2:vw1); (4,2,0,3:vw1) */
/******************************************/

/* calc coords, apply mask, and issue loads (if necessary) */
/* (d1,vc1,d0,vc0)=(4,0,2,0) */
_v_add_co_u32 v10, vcc, v0, 16                     // coord0.1: coord0 += d0*sg0*VW + vc0
v_cmp_lt_u32 s[54:55], v10, s[sgprSizeI]           // coord0 < size0
v_cmp_lt_u32 s[58:59], v1, s[sgprSizeJ]            // coord1 < size1
s_and_b64 s[58:59], s[54:55], s[58:59]             // in0 && in1
_v_add_lshl_u32 v9, v2, v10, 0x2                   // scaleToBpe: accumulate d0 lower and *= bpe into Cin addr
v_cndmask_b32 v9, -1, v9, s[58:59]                 // LDC clip if OOB. offset
_buffer_load_b32 v12, v9, s[sgprSrdC:sgprSrdC+3], 0, offen offset:0 // load C for beta calc
_v_add_lshl_u32 v9, v3, v10, 0x2                   // scaleToBpe: accumulate d0 lower and *= bpe into Cin addr
v_cndmask_b32 v9, -1, v9, s[58:59]                 // LDD clip if OOB. offset
/* (d1,vc1,d0,vc0)=(4,0,2,1) */
_v_add_co_u32 v10, vcc, v0, 17                     // coord0.1: coord0 += d0*sg0*VW + vc0
v_cmp_lt_u32 s[54:55], v10, s[sgprSizeI]           // coord0 < size0
v_cmp_lt_u32 s[58:59], v1, s[sgprSizeJ]            // coord1 < size1
s_and_b64 s[58:59], s[54:55], s[58:59]             // in0 && in1
_v_add_lshl_u32 v14, v2, v10, 0x2                  // scaleToBpe: accumulate d0 lower and *= bpe into Cin addr
v_cndmask_b32 v14, -1, v14, s[58:59]               // LDC clip if OOB. offset
_buffer_load_b32 v15, v14, s[sgprSrdC:sgprSrdC+3], 0, offen offset:0 // load C for beta calc
_v_add_lshl_u32 v14, v3, v10, 0x2                  // scaleToBpe: accumulate d0 lower and *= bpe into Cin addr
v_cndmask_b32 v14, -1, v14, s[58:59]               // LDD clip if OOB. offset
/* (d1,vc1,d0,vc0)=(4,0,2,2) */
_v_add_co_u32 v10, vcc, v0, 18                     // coord0.1: coord0 += d0*sg0*VW + vc0
v_cmp_lt_u32 s[54:55], v10, s[sgprSizeI]           // coord0 < size0
v_cmp_lt_u32 s[58:59], v1, s[sgprSizeJ]            // coord1 < size1
s_and_b64 s[58:59], s[54:55], s[58:59]             // in0 && in1
_v_add_lshl_u32 v17, v2, v10, 0x2                  // scaleToBpe: accumulate d0 lower and *= bpe into Cin addr
v_cndmask_b32 v17, -1, v17, s[58:59]               // LDC clip if OOB. offset
_buffer_load_b32 v18, v17, s[sgprSrdC:sgprSrdC+3], 0, offen offset:0 // load C for beta calc
_v_add_lshl_u32 v17, v3, v10, 0x2                  // scaleToBpe: accumulate d0 lower and *= bpe into Cin addr
v_cndmask_b32 v17, -1, v17, s[58:59]               // LDD clip if OOB. offset
	;; [unrolled: 10-line block ×3, first 2 shown]
v_accvgpr_read_b32 v[vgprValuC+13], acc72 // copy acc to vreg[72]
v_accvgpr_read_b32 v[vgprValuC+16], acc73 // copy acc to vreg[73]
v_accvgpr_read_b32 v[vgprValuC+19], acc74 // copy acc to vreg[74]
v_accvgpr_read_b32 v[vgprValuC+22], acc75 // copy acc to vreg[75]
s_nop 1                                            // 2 wait states required before reading vgpr

/* rC *= alpha batchElements=[(4, 2, 0, 0), (4, 2, 0, 1), (4, 2, 0, 2), (4, 2, 0, 3)] */
v_mul_lo_u32 v[vgprValuC+13], s[sgprAlpha], v[vgprValuC+13] // *= alpha
v_mul_lo_u32 v[vgprValuC+16], s[sgprAlpha], v[vgprValuC+16] // *= alpha
	;; [unrolled: 1-line block ×4, first 2 shown]
s_waitcnt vmcnt(0)                                 // wait C

/* apply mask, calc new C and issue writes */
v_mul_lo_u32 v12, s[sgprBeta], v12                 // C = C*beta
_v_add_u32 v[vgprValuC+13], v12, v[vgprValuC+13]   // finalSum = sum*alpha + C*beta
_ds_store_b32 v7, v13, offset:64                   // storeRemap lw
v_mul_lo_u32 v15, s[sgprBeta], v15                 // C = C*beta
_v_add_u32 v[vgprValuC+16], v15, v[vgprValuC+16]   // finalSum = sum*alpha + C*beta
_ds_store_b32 v7, v16, offset:68                   // storeRemap lw
	;; [unrolled: 3-line block ×4, first 2 shown]
s_nop 0                                            // 1 wait state required when next inst writes vgprs held by previous dwordx4 store inst
/* optSingleColVgpr=0 optSharedColVgpr=0 optSGPRUsage=BufferLoad_Edge_Mask optSrdIncForRow=1 */

/******************************************/
/* Global Write Alpha Beta Edge Batch #19 (d1,d0,vc1,vc0) = */
/*    (4,3,0,0:vw1); (4,3,0,1:vw1); (4,3,0,2:vw1); (4,3,0,3:vw1) */
/******************************************/

/* calc coords, apply mask, and issue loads (if necessary) */
/* (d1,vc1,d0,vc0)=(4,0,3,0) */
_v_add_co_u32 v10, vcc, v0, 24                     // coord0.1: coord0 += d0*sg0*VW + vc0
v_cmp_lt_u32 s[54:55], v10, s[sgprSizeI]           // coord0 < size0
v_cmp_lt_u32 s[58:59], v1, s[sgprSizeJ]            // coord1 < size1
s_and_b64 s[58:59], s[54:55], s[58:59]             // in0 && in1
_v_add_lshl_u32 v9, v2, v10, 0x2                   // scaleToBpe: accumulate d0 lower and *= bpe into Cin addr
v_cndmask_b32 v9, -1, v9, s[58:59]                 // LDC clip if OOB. offset
_buffer_load_b32 v12, v9, s[sgprSrdC:sgprSrdC+3], 0, offen offset:0 // load C for beta calc
_v_add_lshl_u32 v9, v3, v10, 0x2                   // scaleToBpe: accumulate d0 lower and *= bpe into Cin addr
v_cndmask_b32 v9, -1, v9, s[58:59]                 // LDD clip if OOB. offset
/* (d1,vc1,d0,vc0)=(4,0,3,1) */
_v_add_co_u32 v10, vcc, v0, 25                     // coord0.1: coord0 += d0*sg0*VW + vc0
v_cmp_lt_u32 s[54:55], v10, s[sgprSizeI]           // coord0 < size0
v_cmp_lt_u32 s[58:59], v1, s[sgprSizeJ]            // coord1 < size1
s_and_b64 s[58:59], s[54:55], s[58:59]             // in0 && in1
_v_add_lshl_u32 v14, v2, v10, 0x2                  // scaleToBpe: accumulate d0 lower and *= bpe into Cin addr
v_cndmask_b32 v14, -1, v14, s[58:59]               // LDC clip if OOB. offset
_buffer_load_b32 v15, v14, s[sgprSrdC:sgprSrdC+3], 0, offen offset:0 // load C for beta calc
_v_add_lshl_u32 v14, v3, v10, 0x2                  // scaleToBpe: accumulate d0 lower and *= bpe into Cin addr
v_cndmask_b32 v14, -1, v14, s[58:59]               // LDD clip if OOB. offset
/* (d1,vc1,d0,vc0)=(4,0,3,2) */
_v_add_co_u32 v10, vcc, v0, 26                     // coord0.1: coord0 += d0*sg0*VW + vc0
v_cmp_lt_u32 s[54:55], v10, s[sgprSizeI]           // coord0 < size0
v_cmp_lt_u32 s[58:59], v1, s[sgprSizeJ]            // coord1 < size1
s_and_b64 s[58:59], s[54:55], s[58:59]             // in0 && in1
_v_add_lshl_u32 v17, v2, v10, 0x2                  // scaleToBpe: accumulate d0 lower and *= bpe into Cin addr
v_cndmask_b32 v17, -1, v17, s[58:59]               // LDC clip if OOB. offset
_buffer_load_b32 v18, v17, s[sgprSrdC:sgprSrdC+3], 0, offen offset:0 // load C for beta calc
_v_add_lshl_u32 v17, v3, v10, 0x2                  // scaleToBpe: accumulate d0 lower and *= bpe into Cin addr
v_cndmask_b32 v17, -1, v17, s[58:59]               // LDD clip if OOB. offset
	;; [unrolled: 10-line block ×3, first 2 shown]
v_accvgpr_read_b32 v[vgprValuC+13], acc76 // copy acc to vreg[76]
v_accvgpr_read_b32 v[vgprValuC+16], acc77 // copy acc to vreg[77]
v_accvgpr_read_b32 v[vgprValuC+19], acc78 // copy acc to vreg[78]
v_accvgpr_read_b32 v[vgprValuC+22], acc79 // copy acc to vreg[79]
s_nop 1                                            // 2 wait states required before reading vgpr

/* rC *= alpha batchElements=[(4, 3, 0, 0), (4, 3, 0, 1), (4, 3, 0, 2), (4, 3, 0, 3)] */
v_mul_lo_u32 v[vgprValuC+13], s[sgprAlpha], v[vgprValuC+13] // *= alpha
v_mul_lo_u32 v[vgprValuC+16], s[sgprAlpha], v[vgprValuC+16] // *= alpha
	;; [unrolled: 1-line block ×4, first 2 shown]
s_waitcnt vmcnt(0)                                 // wait C

/* apply mask, calc new C and issue writes */
v_mul_lo_u32 v12, s[sgprBeta], v12                 // C = C*beta
_v_add_u32 v[vgprValuC+13], v12, v[vgprValuC+13]   // finalSum = sum*alpha + C*beta
_ds_store_b32 v7, v13, offset:96                   // storeRemap lw
v_mul_lo_u32 v15, s[sgprBeta], v15                 // C = C*beta
_v_add_u32 v[vgprValuC+16], v15, v[vgprValuC+16]   // finalSum = sum*alpha + C*beta
_ds_store_b32 v7, v16, offset:100                  // storeRemap lw
v_mul_lo_u32 v18, s[sgprBeta], v18                 // C = C*beta
_v_add_u32 v[vgprValuC+19], v18, v[vgprValuC+19]   // finalSum = sum*alpha + C*beta
_ds_store_b32 v7, v19, offset:104                  // storeRemap lw
	;; [unrolled: 3-line block ×3, first 2 shown]

/* Handle local read and global write */
s_waitcnt lgkmcnt(0)                               // wait for LDS write
s_barrier //wait all lds write finished

_ds_load_b128 v[12:15], v8, offset:0               // storeRemap lr
_ds_load_b128 v[16:19], v8, offset:1056            // storeRemap lr
_ds_load_b128 v[20:23], v8, offset:2112            // storeRemap lr
	;; [unrolled: 1-line block ×3, first 2 shown]

s_waitcnt lgkmcnt(3)                               // wait for LDS read
_v_add_u32 v11, v5, 0                              // coord1 += nColPerLoad
_v_add_u32 v10, v4, 0                              // coord0 += element index of load vector
_v_add_u32 v9, v6, 0                               // offset coord1 += nColPerLoad
v_cmp_lt_u32 s[54:55], v10, s[sgprSizeI]           // coord0 < size0
v_cmp_lt_u32 s[56:57], v11, s[sgprSizeJ]           // coord1 < size1
s_and_b64 s[56:57], s[54:55], s[56:57]             // in0 && in1
v_mul_lo_u32 v9, v9, s[sgprStrideD1J]              // coord1 element offset =  coord1 * StrideD
_v_add_lshl_u32 v9, v9, v10, 0x2                   // scale to BPE
v_cndmask_b32 v9, -1, v9, s[56:57]                 // clip if OOB. offset
_buffer_store_b32 v12, v9, s[sgprSrdD:sgprSrdD+3], 0, offen, offset:0 // store D
_v_add_u32 v11, v5, 0                              // coord1 += nColPerLoad
_v_add_u32 v10, v4, 1                              // coord0 += element index of load vector
_v_add_u32 v9, v6, 0                               // offset coord1 += nColPerLoad
v_cmp_lt_u32 s[54:55], v10, s[sgprSizeI]           // coord0 < size0
v_cmp_lt_u32 s[56:57], v11, s[sgprSizeJ]           // coord1 < size1
s_and_b64 s[56:57], s[54:55], s[56:57]             // in0 && in1
v_mul_lo_u32 v9, v9, s[sgprStrideD1J]              // coord1 element offset =  coord1 * StrideD
_v_add_lshl_u32 v9, v9, v10, 0x2                   // scale to BPE
v_cndmask_b32 v9, -1, v9, s[56:57]                 // clip if OOB. offset
_buffer_store_b32 v13, v9, s[sgprSrdD:sgprSrdD+3], 0, offen, offset:0 // store D
_v_add_u32 v11, v5, 0                              // coord1 += nColPerLoad
_v_add_u32 v10, v4, 2                              // coord0 += element index of load vector
_v_add_u32 v9, v6, 0                               // offset coord1 += nColPerLoad
v_cmp_lt_u32 s[54:55], v10, s[sgprSizeI]           // coord0 < size0
v_cmp_lt_u32 s[56:57], v11, s[sgprSizeJ]           // coord1 < size1
s_and_b64 s[56:57], s[54:55], s[56:57]             // in0 && in1
v_mul_lo_u32 v9, v9, s[sgprStrideD1J]              // coord1 element offset =  coord1 * StrideD
_v_add_lshl_u32 v9, v9, v10, 0x2                   // scale to BPE
v_cndmask_b32 v9, -1, v9, s[56:57]                 // clip if OOB. offset
_buffer_store_b32 v14, v9, s[sgprSrdD:sgprSrdD+3], 0, offen, offset:0 // store D
_v_add_u32 v11, v5, 0                              // coord1 += nColPerLoad
_v_add_u32 v10, v4, 3                              // coord0 += element index of load vector
_v_add_u32 v9, v6, 0                               // offset coord1 += nColPerLoad
v_cmp_lt_u32 s[54:55], v10, s[sgprSizeI]           // coord0 < size0
v_cmp_lt_u32 s[56:57], v11, s[sgprSizeJ]           // coord1 < size1
s_and_b64 s[56:57], s[54:55], s[56:57]             // in0 && in1
v_mul_lo_u32 v9, v9, s[sgprStrideD1J]              // coord1 element offset =  coord1 * StrideD
_v_add_lshl_u32 v9, v9, v10, 0x2                   // scale to BPE
v_cndmask_b32 v9, -1, v9, s[56:57]                 // clip if OOB. offset
_buffer_store_b32 v15, v9, s[sgprSrdD:sgprSrdD+3], 0, offen, offset:0 // store D
s_waitcnt lgkmcnt(2)                               // wait for LDS read
_v_add_u32 v11, v5, 2                              // coord1 += nColPerLoad
_v_add_u32 v10, v4, 0                              // coord0 += element index of load vector
_v_add_u32 v9, v6, 2                               // offset coord1 += nColPerLoad
v_cmp_lt_u32 s[54:55], v10, s[sgprSizeI]           // coord0 < size0
v_cmp_lt_u32 s[56:57], v11, s[sgprSizeJ]           // coord1 < size1
s_and_b64 s[56:57], s[54:55], s[56:57]             // in0 && in1
v_mul_lo_u32 v9, v9, s[sgprStrideD1J]              // coord1 element offset =  coord1 * StrideD
_v_add_lshl_u32 v9, v9, v10, 0x2                   // scale to BPE
v_cndmask_b32 v9, -1, v9, s[56:57]                 // clip if OOB. offset
_buffer_store_b32 v16, v9, s[sgprSrdD:sgprSrdD+3], 0, offen, offset:0 // store D
_v_add_u32 v11, v5, 2                              // coord1 += nColPerLoad
_v_add_u32 v10, v4, 1                              // coord0 += element index of load vector
_v_add_u32 v9, v6, 2                               // offset coord1 += nColPerLoad
v_cmp_lt_u32 s[54:55], v10, s[sgprSizeI]           // coord0 < size0
v_cmp_lt_u32 s[56:57], v11, s[sgprSizeJ]           // coord1 < size1
s_and_b64 s[56:57], s[54:55], s[56:57]             // in0 && in1
v_mul_lo_u32 v9, v9, s[sgprStrideD1J]              // coord1 element offset =  coord1 * StrideD
_v_add_lshl_u32 v9, v9, v10, 0x2                   // scale to BPE
v_cndmask_b32 v9, -1, v9, s[56:57]                 // clip if OOB. offset
_buffer_store_b32 v17, v9, s[sgprSrdD:sgprSrdD+3], 0, offen, offset:0 // store D
_v_add_u32 v11, v5, 2                              // coord1 += nColPerLoad
_v_add_u32 v10, v4, 2                              // coord0 += element index of load vector
_v_add_u32 v9, v6, 2                               // offset coord1 += nColPerLoad
v_cmp_lt_u32 s[54:55], v10, s[sgprSizeI]           // coord0 < size0
v_cmp_lt_u32 s[56:57], v11, s[sgprSizeJ]           // coord1 < size1
s_and_b64 s[56:57], s[54:55], s[56:57]             // in0 && in1
v_mul_lo_u32 v9, v9, s[sgprStrideD1J]              // coord1 element offset =  coord1 * StrideD
_v_add_lshl_u32 v9, v9, v10, 0x2                   // scale to BPE
v_cndmask_b32 v9, -1, v9, s[56:57]                 // clip if OOB. offset
_buffer_store_b32 v18, v9, s[sgprSrdD:sgprSrdD+3], 0, offen, offset:0 // store D
_v_add_u32 v11, v5, 2                              // coord1 += nColPerLoad
_v_add_u32 v10, v4, 3                              // coord0 += element index of load vector
_v_add_u32 v9, v6, 2                               // offset coord1 += nColPerLoad
v_cmp_lt_u32 s[54:55], v10, s[sgprSizeI]           // coord0 < size0
v_cmp_lt_u32 s[56:57], v11, s[sgprSizeJ]           // coord1 < size1
s_and_b64 s[56:57], s[54:55], s[56:57]             // in0 && in1
v_mul_lo_u32 v9, v9, s[sgprStrideD1J]              // coord1 element offset =  coord1 * StrideD
_v_add_lshl_u32 v9, v9, v10, 0x2                   // scale to BPE
v_cndmask_b32 v9, -1, v9, s[56:57]                 // clip if OOB. offset
_buffer_store_b32 v19, v9, s[sgprSrdD:sgprSrdD+3], 0, offen, offset:0 // store D
	;; [unrolled: 41-line block ×4, first 2 shown]

s_barrier //wait all lds read finished
s_nop 0                                            // 1 wait state required when next inst writes vgprs held by previous dwordx4 store inst
/* optSingleColVgpr=0 optSharedColVgpr=0 optSGPRUsage=BufferLoad_Edge_Mask optSrdIncForRow=1 */

/******************************************/
/* Global Write Alpha Beta Edge Batch #20 (d1,d0,vc1,vc0) = */
/*    (5,0,0,0:vw1); (5,0,0,1:vw1); (5,0,0,2:vw1); (5,0,0,3:vw1) */
/******************************************/

/* calc coords, apply mask, and issue loads (if necessary) */
/* (d1,vc1,d0,vc0)=(5,0,0,0) */
_v_add_co_u32 v1, vcc, v1, 32                      // coord1.1: coord1Vgpr += d1*sg1*VW + vc1
v_cmp_lt_u32 s[54:55], v0, s[sgprSizeI]            // coord0 < size0
v_cmp_lt_u32 s[58:59], v1, s[sgprSizeJ]            // coord1 < size1
s_and_b64 s[58:59], s[54:55], s[58:59]             // in0 && in1
_v_add_lshl_u32 v9, v2, v0, 0x2                    // scaleToBpe: accumulate d0 lower and *= bpe into Cin addr
v_cndmask_b32 v9, -1, v9, s[58:59]                 // LDC clip if OOB. offset
s_mul_i32 s54, s[sgprStrideC1J], 128               // scale StrideC *= numRows(32) * bpe
s_add_u32  s[sgprSrdC+0], s[sgprSrdC+0], s54       // incToNextRow: gra SRD += inc(lower)
s_addc_u32  s[sgprSrdC+1], s[sgprSrdC+1], 0        // incToNextRow: gra SRD += inc(upper)
_buffer_load_b32 v12, v9, s[sgprSrdC:sgprSrdC+3], 0, offen offset:0 // load C for beta calc
_v_add_lshl_u32 v9, v3, v0, 0x2                    // scaleToBpe: accumulate d0 lower and *= bpe into Cin addr
v_cndmask_b32 v9, -1, v9, s[58:59]                 // LDD clip if OOB. offset
/* (d1,vc1,d0,vc0)=(5,0,0,1) */
_v_add_co_u32 v10, vcc, v0, 1                      // coord0.1: coord0 += d0*sg0*VW + vc0
v_cmp_lt_u32 s[54:55], v10, s[sgprSizeI]           // coord0 < size0
v_cmp_lt_u32 s[58:59], v1, s[sgprSizeJ]            // coord1 < size1
s_and_b64 s[58:59], s[54:55], s[58:59]             // in0 && in1
_v_add_lshl_u32 v14, v2, v10, 0x2                  // scaleToBpe: accumulate d0 lower and *= bpe into Cin addr
v_cndmask_b32 v14, -1, v14, s[58:59]               // LDC clip if OOB. offset
_buffer_load_b32 v15, v14, s[sgprSrdC:sgprSrdC+3], 0, offen offset:0 // load C for beta calc
_v_add_lshl_u32 v14, v3, v10, 0x2                  // scaleToBpe: accumulate d0 lower and *= bpe into Cin addr
v_cndmask_b32 v14, -1, v14, s[58:59]               // LDD clip if OOB. offset
/* (d1,vc1,d0,vc0)=(5,0,0,2) */
_v_add_co_u32 v10, vcc, v0, 2                      // coord0.1: coord0 += d0*sg0*VW + vc0
v_cmp_lt_u32 s[54:55], v10, s[sgprSizeI]           // coord0 < size0
v_cmp_lt_u32 s[58:59], v1, s[sgprSizeJ]            // coord1 < size1
s_and_b64 s[58:59], s[54:55], s[58:59]             // in0 && in1
_v_add_lshl_u32 v17, v2, v10, 0x2                  // scaleToBpe: accumulate d0 lower and *= bpe into Cin addr
v_cndmask_b32 v17, -1, v17, s[58:59]               // LDC clip if OOB. offset
_buffer_load_b32 v18, v17, s[sgprSrdC:sgprSrdC+3], 0, offen offset:0 // load C for beta calc
_v_add_lshl_u32 v17, v3, v10, 0x2                  // scaleToBpe: accumulate d0 lower and *= bpe into Cin addr
v_cndmask_b32 v17, -1, v17, s[58:59]               // LDD clip if OOB. offset
	;; [unrolled: 10-line block ×3, first 2 shown]
v_accvgpr_read_b32 v[vgprValuC+13], acc80 // copy acc to vreg[80]
v_accvgpr_read_b32 v[vgprValuC+16], acc81 // copy acc to vreg[81]
v_accvgpr_read_b32 v[vgprValuC+19], acc82 // copy acc to vreg[82]
v_accvgpr_read_b32 v[vgprValuC+22], acc83 // copy acc to vreg[83]
s_nop 1                                            // 2 wait states required before reading vgpr

/* rC *= alpha batchElements=[(5, 0, 0, 0), (5, 0, 0, 1), (5, 0, 0, 2), (5, 0, 0, 3)] */
v_mul_lo_u32 v[vgprValuC+13], s[sgprAlpha], v[vgprValuC+13] // *= alpha
v_mul_lo_u32 v[vgprValuC+16], s[sgprAlpha], v[vgprValuC+16] // *= alpha
	;; [unrolled: 1-line block ×4, first 2 shown]
s_waitcnt vmcnt(0)                                 // wait C

/* apply mask, calc new C and issue writes */

/* StoreRemap: shift coord1 address */
s_mul_i32 s54, s[sgprStrideD1J], 128               // scale StrideD *= numRows(32) * bpe
s_add_u32  s[sgprSrdD+0], s[sgprSrdD+0], s54       // incToNextRow: gra SRD += inc(lower)
s_addc_u32  s[sgprSrdD+1], s[sgprSrdD+1], 0        // incToNextRow: gra SRD += inc(upper)
v_mov_b32 v10, 32                                  // set shift rows
_v_add_u32 v5, v5, v10                             // shift storeRemap coord1
v_mul_lo_u32 v12, s[sgprBeta], v12                 // C = C*beta
_v_add_u32 v[vgprValuC+13], v12, v[vgprValuC+13]   // finalSum = sum*alpha + C*beta
_ds_store_b32 v7, v13, offset:0                    // storeRemap lw
v_mul_lo_u32 v15, s[sgprBeta], v15                 // C = C*beta
_v_add_u32 v[vgprValuC+16], v15, v[vgprValuC+16]   // finalSum = sum*alpha + C*beta
_ds_store_b32 v7, v16, offset:4                    // storeRemap lw
	;; [unrolled: 3-line block ×3, first 2 shown]
v_mul_lo_u32 v21, s[sgprBeta], v21                 // C = C*beta
_v_add_u32 v[vgprValuC+22], v21, v[vgprValuC+22]   // finalSum = sum*alpha + C*beta
_ds_store_b32 v7, v22, offset:12                   // storeRemap lw
s_nop 0                                            // 1 wait state required when next inst writes vgprs held by previous dwordx4 store inst
/* optSingleColVgpr=0 optSharedColVgpr=0 optSGPRUsage=BufferLoad_Edge_Mask optSrdIncForRow=1 */

/******************************************/
/* Global Write Alpha Beta Edge Batch #21 (d1,d0,vc1,vc0) = */
/*    (5,1,0,0:vw1); (5,1,0,1:vw1); (5,1,0,2:vw1); (5,1,0,3:vw1) */
/******************************************/

/* calc coords, apply mask, and issue loads (if necessary) */
/* (d1,vc1,d0,vc0)=(5,0,1,0) */
_v_add_co_u32 v10, vcc, v0, 8                      // coord0.1: coord0 += d0*sg0*VW + vc0
v_cmp_lt_u32 s[54:55], v10, s[sgprSizeI]           // coord0 < size0
v_cmp_lt_u32 s[58:59], v1, s[sgprSizeJ]            // coord1 < size1
s_and_b64 s[58:59], s[54:55], s[58:59]             // in0 && in1
_v_add_lshl_u32 v9, v2, v10, 0x2                   // scaleToBpe: accumulate d0 lower and *= bpe into Cin addr
v_cndmask_b32 v9, -1, v9, s[58:59]                 // LDC clip if OOB. offset
_buffer_load_b32 v12, v9, s[sgprSrdC:sgprSrdC+3], 0, offen offset:0 // load C for beta calc
_v_add_lshl_u32 v9, v3, v10, 0x2                   // scaleToBpe: accumulate d0 lower and *= bpe into Cin addr
v_cndmask_b32 v9, -1, v9, s[58:59]                 // LDD clip if OOB. offset
/* (d1,vc1,d0,vc0)=(5,0,1,1) */
_v_add_co_u32 v10, vcc, v0, 9                      // coord0.1: coord0 += d0*sg0*VW + vc0
v_cmp_lt_u32 s[54:55], v10, s[sgprSizeI]           // coord0 < size0
v_cmp_lt_u32 s[58:59], v1, s[sgprSizeJ]            // coord1 < size1
s_and_b64 s[58:59], s[54:55], s[58:59]             // in0 && in1
_v_add_lshl_u32 v14, v2, v10, 0x2                  // scaleToBpe: accumulate d0 lower and *= bpe into Cin addr
v_cndmask_b32 v14, -1, v14, s[58:59]               // LDC clip if OOB. offset
_buffer_load_b32 v15, v14, s[sgprSrdC:sgprSrdC+3], 0, offen offset:0 // load C for beta calc
_v_add_lshl_u32 v14, v3, v10, 0x2                  // scaleToBpe: accumulate d0 lower and *= bpe into Cin addr
v_cndmask_b32 v14, -1, v14, s[58:59]               // LDD clip if OOB. offset
/* (d1,vc1,d0,vc0)=(5,0,1,2) */
_v_add_co_u32 v10, vcc, v0, 10                     // coord0.1: coord0 += d0*sg0*VW + vc0
v_cmp_lt_u32 s[54:55], v10, s[sgprSizeI]           // coord0 < size0
v_cmp_lt_u32 s[58:59], v1, s[sgprSizeJ]            // coord1 < size1
s_and_b64 s[58:59], s[54:55], s[58:59]             // in0 && in1
_v_add_lshl_u32 v17, v2, v10, 0x2                  // scaleToBpe: accumulate d0 lower and *= bpe into Cin addr
v_cndmask_b32 v17, -1, v17, s[58:59]               // LDC clip if OOB. offset
_buffer_load_b32 v18, v17, s[sgprSrdC:sgprSrdC+3], 0, offen offset:0 // load C for beta calc
_v_add_lshl_u32 v17, v3, v10, 0x2                  // scaleToBpe: accumulate d0 lower and *= bpe into Cin addr
v_cndmask_b32 v17, -1, v17, s[58:59]               // LDD clip if OOB. offset
/* (d1,vc1,d0,vc0)=(5,0,1,3) */
_v_add_co_u32 v10, vcc, v0, 11                     // coord0.1: coord0 += d0*sg0*VW + vc0
v_cmp_lt_u32 s[54:55], v10, s[sgprSizeI]           // coord0 < size0
v_cmp_lt_u32 s[58:59], v1, s[sgprSizeJ]            // coord1 < size1
s_and_b64 s[58:59], s[54:55], s[58:59]             // in0 && in1
_v_add_lshl_u32 v20, v2, v10, 0x2                  // scaleToBpe: accumulate d0 lower and *= bpe into Cin addr
v_cndmask_b32 v20, -1, v20, s[58:59]               // LDC clip if OOB. offset
_buffer_load_b32 v21, v20, s[sgprSrdC:sgprSrdC+3], 0, offen offset:0 // load C for beta calc
_v_add_lshl_u32 v20, v3, v10, 0x2                  // scaleToBpe: accumulate d0 lower and *= bpe into Cin addr
v_cndmask_b32 v20, -1, v20, s[58:59]               // LDD clip if OOB. offset
v_accvgpr_read_b32 v[vgprValuC+13], acc84 // copy acc to vreg[84]
v_accvgpr_read_b32 v[vgprValuC+16], acc85 // copy acc to vreg[85]
v_accvgpr_read_b32 v[vgprValuC+19], acc86 // copy acc to vreg[86]
v_accvgpr_read_b32 v[vgprValuC+22], acc87 // copy acc to vreg[87]
s_nop 1                                            // 2 wait states required before reading vgpr

/* rC *= alpha batchElements=[(5, 1, 0, 0), (5, 1, 0, 1), (5, 1, 0, 2), (5, 1, 0, 3)] */
v_mul_lo_u32 v[vgprValuC+13], s[sgprAlpha], v[vgprValuC+13] // *= alpha
v_mul_lo_u32 v[vgprValuC+16], s[sgprAlpha], v[vgprValuC+16] // *= alpha
	;; [unrolled: 1-line block ×4, first 2 shown]
s_waitcnt vmcnt(0)                                 // wait C

/* apply mask, calc new C and issue writes */
v_mul_lo_u32 v12, s[sgprBeta], v12                 // C = C*beta
_v_add_u32 v[vgprValuC+13], v12, v[vgprValuC+13]   // finalSum = sum*alpha + C*beta
_ds_store_b32 v7, v13, offset:32                   // storeRemap lw
v_mul_lo_u32 v15, s[sgprBeta], v15                 // C = C*beta
_v_add_u32 v[vgprValuC+16], v15, v[vgprValuC+16]   // finalSum = sum*alpha + C*beta
_ds_store_b32 v7, v16, offset:36                   // storeRemap lw
	;; [unrolled: 3-line block ×4, first 2 shown]
s_nop 0                                            // 1 wait state required when next inst writes vgprs held by previous dwordx4 store inst
/* optSingleColVgpr=0 optSharedColVgpr=0 optSGPRUsage=BufferLoad_Edge_Mask optSrdIncForRow=1 */

/******************************************/
/* Global Write Alpha Beta Edge Batch #22 (d1,d0,vc1,vc0) = */
/*    (5,2,0,0:vw1); (5,2,0,1:vw1); (5,2,0,2:vw1); (5,2,0,3:vw1) */
/******************************************/

/* calc coords, apply mask, and issue loads (if necessary) */
/* (d1,vc1,d0,vc0)=(5,0,2,0) */
_v_add_co_u32 v10, vcc, v0, 16                     // coord0.1: coord0 += d0*sg0*VW + vc0
v_cmp_lt_u32 s[54:55], v10, s[sgprSizeI]           // coord0 < size0
v_cmp_lt_u32 s[58:59], v1, s[sgprSizeJ]            // coord1 < size1
s_and_b64 s[58:59], s[54:55], s[58:59]             // in0 && in1
_v_add_lshl_u32 v9, v2, v10, 0x2                   // scaleToBpe: accumulate d0 lower and *= bpe into Cin addr
v_cndmask_b32 v9, -1, v9, s[58:59]                 // LDC clip if OOB. offset
_buffer_load_b32 v12, v9, s[sgprSrdC:sgprSrdC+3], 0, offen offset:0 // load C for beta calc
_v_add_lshl_u32 v9, v3, v10, 0x2                   // scaleToBpe: accumulate d0 lower and *= bpe into Cin addr
v_cndmask_b32 v9, -1, v9, s[58:59]                 // LDD clip if OOB. offset
/* (d1,vc1,d0,vc0)=(5,0,2,1) */
_v_add_co_u32 v10, vcc, v0, 17                     // coord0.1: coord0 += d0*sg0*VW + vc0
v_cmp_lt_u32 s[54:55], v10, s[sgprSizeI]           // coord0 < size0
v_cmp_lt_u32 s[58:59], v1, s[sgprSizeJ]            // coord1 < size1
s_and_b64 s[58:59], s[54:55], s[58:59]             // in0 && in1
_v_add_lshl_u32 v14, v2, v10, 0x2                  // scaleToBpe: accumulate d0 lower and *= bpe into Cin addr
v_cndmask_b32 v14, -1, v14, s[58:59]               // LDC clip if OOB. offset
_buffer_load_b32 v15, v14, s[sgprSrdC:sgprSrdC+3], 0, offen offset:0 // load C for beta calc
_v_add_lshl_u32 v14, v3, v10, 0x2                  // scaleToBpe: accumulate d0 lower and *= bpe into Cin addr
v_cndmask_b32 v14, -1, v14, s[58:59]               // LDD clip if OOB. offset
/* (d1,vc1,d0,vc0)=(5,0,2,2) */
_v_add_co_u32 v10, vcc, v0, 18                     // coord0.1: coord0 += d0*sg0*VW + vc0
v_cmp_lt_u32 s[54:55], v10, s[sgprSizeI]           // coord0 < size0
v_cmp_lt_u32 s[58:59], v1, s[sgprSizeJ]            // coord1 < size1
s_and_b64 s[58:59], s[54:55], s[58:59]             // in0 && in1
_v_add_lshl_u32 v17, v2, v10, 0x2                  // scaleToBpe: accumulate d0 lower and *= bpe into Cin addr
v_cndmask_b32 v17, -1, v17, s[58:59]               // LDC clip if OOB. offset
_buffer_load_b32 v18, v17, s[sgprSrdC:sgprSrdC+3], 0, offen offset:0 // load C for beta calc
_v_add_lshl_u32 v17, v3, v10, 0x2                  // scaleToBpe: accumulate d0 lower and *= bpe into Cin addr
v_cndmask_b32 v17, -1, v17, s[58:59]               // LDD clip if OOB. offset
/* (d1,vc1,d0,vc0)=(5,0,2,3) */
_v_add_co_u32 v10, vcc, v0, 19                     // coord0.1: coord0 += d0*sg0*VW + vc0
v_cmp_lt_u32 s[54:55], v10, s[sgprSizeI]           // coord0 < size0
v_cmp_lt_u32 s[58:59], v1, s[sgprSizeJ]            // coord1 < size1
s_and_b64 s[58:59], s[54:55], s[58:59]             // in0 && in1
_v_add_lshl_u32 v20, v2, v10, 0x2                  // scaleToBpe: accumulate d0 lower and *= bpe into Cin addr
v_cndmask_b32 v20, -1, v20, s[58:59]               // LDC clip if OOB. offset
_buffer_load_b32 v21, v20, s[sgprSrdC:sgprSrdC+3], 0, offen offset:0 // load C for beta calc
_v_add_lshl_u32 v20, v3, v10, 0x2                  // scaleToBpe: accumulate d0 lower and *= bpe into Cin addr
v_cndmask_b32 v20, -1, v20, s[58:59]               // LDD clip if OOB. offset
v_accvgpr_read_b32 v[vgprValuC+13], acc88 // copy acc to vreg[88]
v_accvgpr_read_b32 v[vgprValuC+16], acc89 // copy acc to vreg[89]
v_accvgpr_read_b32 v[vgprValuC+19], acc90 // copy acc to vreg[90]
v_accvgpr_read_b32 v[vgprValuC+22], acc91 // copy acc to vreg[91]
s_nop 1                                            // 2 wait states required before reading vgpr

/* rC *= alpha batchElements=[(5, 2, 0, 0), (5, 2, 0, 1), (5, 2, 0, 2), (5, 2, 0, 3)] */
v_mul_lo_u32 v[vgprValuC+13], s[sgprAlpha], v[vgprValuC+13] // *= alpha
v_mul_lo_u32 v[vgprValuC+16], s[sgprAlpha], v[vgprValuC+16] // *= alpha
	;; [unrolled: 1-line block ×4, first 2 shown]
s_waitcnt vmcnt(0)                                 // wait C

/* apply mask, calc new C and issue writes */
v_mul_lo_u32 v12, s[sgprBeta], v12                 // C = C*beta
_v_add_u32 v[vgprValuC+13], v12, v[vgprValuC+13]   // finalSum = sum*alpha + C*beta
_ds_store_b32 v7, v13, offset:64                   // storeRemap lw
v_mul_lo_u32 v15, s[sgprBeta], v15                 // C = C*beta
_v_add_u32 v[vgprValuC+16], v15, v[vgprValuC+16]   // finalSum = sum*alpha + C*beta
_ds_store_b32 v7, v16, offset:68                   // storeRemap lw
	;; [unrolled: 3-line block ×4, first 2 shown]
s_nop 0                                            // 1 wait state required when next inst writes vgprs held by previous dwordx4 store inst
/* optSingleColVgpr=0 optSharedColVgpr=0 optSGPRUsage=BufferLoad_Edge_Mask optSrdIncForRow=1 */

/******************************************/
/* Global Write Alpha Beta Edge Batch #23 (d1,d0,vc1,vc0) = */
/*    (5,3,0,0:vw1); (5,3,0,1:vw1); (5,3,0,2:vw1); (5,3,0,3:vw1) */
/******************************************/

/* calc coords, apply mask, and issue loads (if necessary) */
/* (d1,vc1,d0,vc0)=(5,0,3,0) */
_v_add_co_u32 v10, vcc, v0, 24                     // coord0.1: coord0 += d0*sg0*VW + vc0
v_cmp_lt_u32 s[54:55], v10, s[sgprSizeI]           // coord0 < size0
v_cmp_lt_u32 s[58:59], v1, s[sgprSizeJ]            // coord1 < size1
s_and_b64 s[58:59], s[54:55], s[58:59]             // in0 && in1
_v_add_lshl_u32 v9, v2, v10, 0x2                   // scaleToBpe: accumulate d0 lower and *= bpe into Cin addr
v_cndmask_b32 v9, -1, v9, s[58:59]                 // LDC clip if OOB. offset
_buffer_load_b32 v12, v9, s[sgprSrdC:sgprSrdC+3], 0, offen offset:0 // load C for beta calc
_v_add_lshl_u32 v9, v3, v10, 0x2                   // scaleToBpe: accumulate d0 lower and *= bpe into Cin addr
v_cndmask_b32 v9, -1, v9, s[58:59]                 // LDD clip if OOB. offset
/* (d1,vc1,d0,vc0)=(5,0,3,1) */
_v_add_co_u32 v10, vcc, v0, 25                     // coord0.1: coord0 += d0*sg0*VW + vc0
v_cmp_lt_u32 s[54:55], v10, s[sgprSizeI]           // coord0 < size0
v_cmp_lt_u32 s[58:59], v1, s[sgprSizeJ]            // coord1 < size1
s_and_b64 s[58:59], s[54:55], s[58:59]             // in0 && in1
_v_add_lshl_u32 v14, v2, v10, 0x2                  // scaleToBpe: accumulate d0 lower and *= bpe into Cin addr
v_cndmask_b32 v14, -1, v14, s[58:59]               // LDC clip if OOB. offset
_buffer_load_b32 v15, v14, s[sgprSrdC:sgprSrdC+3], 0, offen offset:0 // load C for beta calc
_v_add_lshl_u32 v14, v3, v10, 0x2                  // scaleToBpe: accumulate d0 lower and *= bpe into Cin addr
v_cndmask_b32 v14, -1, v14, s[58:59]               // LDD clip if OOB. offset
/* (d1,vc1,d0,vc0)=(5,0,3,2) */
_v_add_co_u32 v10, vcc, v0, 26                     // coord0.1: coord0 += d0*sg0*VW + vc0
v_cmp_lt_u32 s[54:55], v10, s[sgprSizeI]           // coord0 < size0
v_cmp_lt_u32 s[58:59], v1, s[sgprSizeJ]            // coord1 < size1
s_and_b64 s[58:59], s[54:55], s[58:59]             // in0 && in1
_v_add_lshl_u32 v17, v2, v10, 0x2                  // scaleToBpe: accumulate d0 lower and *= bpe into Cin addr
v_cndmask_b32 v17, -1, v17, s[58:59]               // LDC clip if OOB. offset
_buffer_load_b32 v18, v17, s[sgprSrdC:sgprSrdC+3], 0, offen offset:0 // load C for beta calc
_v_add_lshl_u32 v17, v3, v10, 0x2                  // scaleToBpe: accumulate d0 lower and *= bpe into Cin addr
v_cndmask_b32 v17, -1, v17, s[58:59]               // LDD clip if OOB. offset
	;; [unrolled: 10-line block ×3, first 2 shown]
v_accvgpr_read_b32 v[vgprValuC+13], acc92 // copy acc to vreg[92]
v_accvgpr_read_b32 v[vgprValuC+16], acc93 // copy acc to vreg[93]
v_accvgpr_read_b32 v[vgprValuC+19], acc94 // copy acc to vreg[94]
v_accvgpr_read_b32 v[vgprValuC+22], acc95 // copy acc to vreg[95]
s_nop 1                                            // 2 wait states required before reading vgpr

/* rC *= alpha batchElements=[(5, 3, 0, 0), (5, 3, 0, 1), (5, 3, 0, 2), (5, 3, 0, 3)] */
v_mul_lo_u32 v[vgprValuC+13], s[sgprAlpha], v[vgprValuC+13] // *= alpha
v_mul_lo_u32 v[vgprValuC+16], s[sgprAlpha], v[vgprValuC+16] // *= alpha
	;; [unrolled: 1-line block ×4, first 2 shown]
s_waitcnt vmcnt(0)                                 // wait C

/* apply mask, calc new C and issue writes */
v_mul_lo_u32 v12, s[sgprBeta], v12                 // C = C*beta
_v_add_u32 v[vgprValuC+13], v12, v[vgprValuC+13]   // finalSum = sum*alpha + C*beta
_ds_store_b32 v7, v13, offset:96                   // storeRemap lw
v_mul_lo_u32 v15, s[sgprBeta], v15                 // C = C*beta
_v_add_u32 v[vgprValuC+16], v15, v[vgprValuC+16]   // finalSum = sum*alpha + C*beta
_ds_store_b32 v7, v16, offset:100                  // storeRemap lw
v_mul_lo_u32 v18, s[sgprBeta], v18                 // C = C*beta
_v_add_u32 v[vgprValuC+19], v18, v[vgprValuC+19]   // finalSum = sum*alpha + C*beta
_ds_store_b32 v7, v19, offset:104                  // storeRemap lw
	;; [unrolled: 3-line block ×3, first 2 shown]

/* Handle local read and global write */
s_waitcnt lgkmcnt(0)                               // wait for LDS write
s_barrier //wait all lds write finished

_ds_load_b128 v[12:15], v8, offset:0               // storeRemap lr
_ds_load_b128 v[16:19], v8, offset:1056            // storeRemap lr
_ds_load_b128 v[20:23], v8, offset:2112            // storeRemap lr
	;; [unrolled: 1-line block ×3, first 2 shown]

s_waitcnt lgkmcnt(3)                               // wait for LDS read
_v_add_u32 v11, v5, 0                              // coord1 += nColPerLoad
_v_add_u32 v10, v4, 0                              // coord0 += element index of load vector
_v_add_u32 v9, v6, 0                               // offset coord1 += nColPerLoad
v_cmp_lt_u32 s[54:55], v10, s[sgprSizeI]           // coord0 < size0
v_cmp_lt_u32 s[56:57], v11, s[sgprSizeJ]           // coord1 < size1
s_and_b64 s[56:57], s[54:55], s[56:57]             // in0 && in1
v_mul_lo_u32 v9, v9, s[sgprStrideD1J]              // coord1 element offset =  coord1 * StrideD
_v_add_lshl_u32 v9, v9, v10, 0x2                   // scale to BPE
v_cndmask_b32 v9, -1, v9, s[56:57]                 // clip if OOB. offset
_buffer_store_b32 v12, v9, s[sgprSrdD:sgprSrdD+3], 0, offen, offset:0 // store D
_v_add_u32 v11, v5, 0                              // coord1 += nColPerLoad
_v_add_u32 v10, v4, 1                              // coord0 += element index of load vector
_v_add_u32 v9, v6, 0                               // offset coord1 += nColPerLoad
v_cmp_lt_u32 s[54:55], v10, s[sgprSizeI]           // coord0 < size0
v_cmp_lt_u32 s[56:57], v11, s[sgprSizeJ]           // coord1 < size1
s_and_b64 s[56:57], s[54:55], s[56:57]             // in0 && in1
v_mul_lo_u32 v9, v9, s[sgprStrideD1J]              // coord1 element offset =  coord1 * StrideD
_v_add_lshl_u32 v9, v9, v10, 0x2                   // scale to BPE
v_cndmask_b32 v9, -1, v9, s[56:57]                 // clip if OOB. offset
_buffer_store_b32 v13, v9, s[sgprSrdD:sgprSrdD+3], 0, offen, offset:0 // store D
_v_add_u32 v11, v5, 0                              // coord1 += nColPerLoad
_v_add_u32 v10, v4, 2                              // coord0 += element index of load vector
_v_add_u32 v9, v6, 0                               // offset coord1 += nColPerLoad
v_cmp_lt_u32 s[54:55], v10, s[sgprSizeI]           // coord0 < size0
v_cmp_lt_u32 s[56:57], v11, s[sgprSizeJ]           // coord1 < size1
s_and_b64 s[56:57], s[54:55], s[56:57]             // in0 && in1
v_mul_lo_u32 v9, v9, s[sgprStrideD1J]              // coord1 element offset =  coord1 * StrideD
_v_add_lshl_u32 v9, v9, v10, 0x2                   // scale to BPE
v_cndmask_b32 v9, -1, v9, s[56:57]                 // clip if OOB. offset
_buffer_store_b32 v14, v9, s[sgprSrdD:sgprSrdD+3], 0, offen, offset:0 // store D
_v_add_u32 v11, v5, 0                              // coord1 += nColPerLoad
_v_add_u32 v10, v4, 3                              // coord0 += element index of load vector
_v_add_u32 v9, v6, 0                               // offset coord1 += nColPerLoad
v_cmp_lt_u32 s[54:55], v10, s[sgprSizeI]           // coord0 < size0
v_cmp_lt_u32 s[56:57], v11, s[sgprSizeJ]           // coord1 < size1
s_and_b64 s[56:57], s[54:55], s[56:57]             // in0 && in1
v_mul_lo_u32 v9, v9, s[sgprStrideD1J]              // coord1 element offset =  coord1 * StrideD
_v_add_lshl_u32 v9, v9, v10, 0x2                   // scale to BPE
v_cndmask_b32 v9, -1, v9, s[56:57]                 // clip if OOB. offset
_buffer_store_b32 v15, v9, s[sgprSrdD:sgprSrdD+3], 0, offen, offset:0 // store D
s_waitcnt lgkmcnt(2)                               // wait for LDS read
_v_add_u32 v11, v5, 2                              // coord1 += nColPerLoad
_v_add_u32 v10, v4, 0                              // coord0 += element index of load vector
_v_add_u32 v9, v6, 2                               // offset coord1 += nColPerLoad
v_cmp_lt_u32 s[54:55], v10, s[sgprSizeI]           // coord0 < size0
v_cmp_lt_u32 s[56:57], v11, s[sgprSizeJ]           // coord1 < size1
s_and_b64 s[56:57], s[54:55], s[56:57]             // in0 && in1
v_mul_lo_u32 v9, v9, s[sgprStrideD1J]              // coord1 element offset =  coord1 * StrideD
_v_add_lshl_u32 v9, v9, v10, 0x2                   // scale to BPE
v_cndmask_b32 v9, -1, v9, s[56:57]                 // clip if OOB. offset
_buffer_store_b32 v16, v9, s[sgprSrdD:sgprSrdD+3], 0, offen, offset:0 // store D
_v_add_u32 v11, v5, 2                              // coord1 += nColPerLoad
_v_add_u32 v10, v4, 1                              // coord0 += element index of load vector
_v_add_u32 v9, v6, 2                               // offset coord1 += nColPerLoad
v_cmp_lt_u32 s[54:55], v10, s[sgprSizeI]           // coord0 < size0
v_cmp_lt_u32 s[56:57], v11, s[sgprSizeJ]           // coord1 < size1
s_and_b64 s[56:57], s[54:55], s[56:57]             // in0 && in1
v_mul_lo_u32 v9, v9, s[sgprStrideD1J]              // coord1 element offset =  coord1 * StrideD
_v_add_lshl_u32 v9, v9, v10, 0x2                   // scale to BPE
v_cndmask_b32 v9, -1, v9, s[56:57]                 // clip if OOB. offset
_buffer_store_b32 v17, v9, s[sgprSrdD:sgprSrdD+3], 0, offen, offset:0 // store D
_v_add_u32 v11, v5, 2                              // coord1 += nColPerLoad
_v_add_u32 v10, v4, 2                              // coord0 += element index of load vector
_v_add_u32 v9, v6, 2                               // offset coord1 += nColPerLoad
v_cmp_lt_u32 s[54:55], v10, s[sgprSizeI]           // coord0 < size0
v_cmp_lt_u32 s[56:57], v11, s[sgprSizeJ]           // coord1 < size1
s_and_b64 s[56:57], s[54:55], s[56:57]             // in0 && in1
v_mul_lo_u32 v9, v9, s[sgprStrideD1J]              // coord1 element offset =  coord1 * StrideD
_v_add_lshl_u32 v9, v9, v10, 0x2                   // scale to BPE
v_cndmask_b32 v9, -1, v9, s[56:57]                 // clip if OOB. offset
_buffer_store_b32 v18, v9, s[sgprSrdD:sgprSrdD+3], 0, offen, offset:0 // store D
_v_add_u32 v11, v5, 2                              // coord1 += nColPerLoad
_v_add_u32 v10, v4, 3                              // coord0 += element index of load vector
_v_add_u32 v9, v6, 2                               // offset coord1 += nColPerLoad
v_cmp_lt_u32 s[54:55], v10, s[sgprSizeI]           // coord0 < size0
v_cmp_lt_u32 s[56:57], v11, s[sgprSizeJ]           // coord1 < size1
s_and_b64 s[56:57], s[54:55], s[56:57]             // in0 && in1
v_mul_lo_u32 v9, v9, s[sgprStrideD1J]              // coord1 element offset =  coord1 * StrideD
_v_add_lshl_u32 v9, v9, v10, 0x2                   // scale to BPE
v_cndmask_b32 v9, -1, v9, s[56:57]                 // clip if OOB. offset
_buffer_store_b32 v19, v9, s[sgprSrdD:sgprSrdD+3], 0, offen, offset:0 // store D
s_waitcnt lgkmcnt(1)                               // wait for LDS read
_v_add_u32 v11, v5, 4                              // coord1 += nColPerLoad
_v_add_u32 v10, v4, 0                              // coord0 += element index of load vector
_v_add_u32 v9, v6, 4                               // offset coord1 += nColPerLoad
v_cmp_lt_u32 s[54:55], v10, s[sgprSizeI]           // coord0 < size0
v_cmp_lt_u32 s[56:57], v11, s[sgprSizeJ]           // coord1 < size1
s_and_b64 s[56:57], s[54:55], s[56:57]             // in0 && in1
v_mul_lo_u32 v9, v9, s[sgprStrideD1J]              // coord1 element offset =  coord1 * StrideD
_v_add_lshl_u32 v9, v9, v10, 0x2                   // scale to BPE
v_cndmask_b32 v9, -1, v9, s[56:57]                 // clip if OOB. offset
_buffer_store_b32 v20, v9, s[sgprSrdD:sgprSrdD+3], 0, offen, offset:0 // store D
_v_add_u32 v11, v5, 4                              // coord1 += nColPerLoad
_v_add_u32 v10, v4, 1                              // coord0 += element index of load vector
_v_add_u32 v9, v6, 4                               // offset coord1 += nColPerLoad
v_cmp_lt_u32 s[54:55], v10, s[sgprSizeI]           // coord0 < size0
v_cmp_lt_u32 s[56:57], v11, s[sgprSizeJ]           // coord1 < size1
s_and_b64 s[56:57], s[54:55], s[56:57]             // in0 && in1
v_mul_lo_u32 v9, v9, s[sgprStrideD1J]              // coord1 element offset =  coord1 * StrideD
_v_add_lshl_u32 v9, v9, v10, 0x2                   // scale to BPE
v_cndmask_b32 v9, -1, v9, s[56:57]                 // clip if OOB. offset
_buffer_store_b32 v21, v9, s[sgprSrdD:sgprSrdD+3], 0, offen, offset:0 // store D
_v_add_u32 v11, v5, 4                              // coord1 += nColPerLoad
_v_add_u32 v10, v4, 2                              // coord0 += element index of load vector
_v_add_u32 v9, v6, 4                               // offset coord1 += nColPerLoad
v_cmp_lt_u32 s[54:55], v10, s[sgprSizeI]           // coord0 < size0
v_cmp_lt_u32 s[56:57], v11, s[sgprSizeJ]           // coord1 < size1
s_and_b64 s[56:57], s[54:55], s[56:57]             // in0 && in1
v_mul_lo_u32 v9, v9, s[sgprStrideD1J]              // coord1 element offset =  coord1 * StrideD
_v_add_lshl_u32 v9, v9, v10, 0x2                   // scale to BPE
v_cndmask_b32 v9, -1, v9, s[56:57]                 // clip if OOB. offset
_buffer_store_b32 v22, v9, s[sgprSrdD:sgprSrdD+3], 0, offen, offset:0 // store D
_v_add_u32 v11, v5, 4                              // coord1 += nColPerLoad
_v_add_u32 v10, v4, 3                              // coord0 += element index of load vector
_v_add_u32 v9, v6, 4                               // offset coord1 += nColPerLoad
v_cmp_lt_u32 s[54:55], v10, s[sgprSizeI]           // coord0 < size0
v_cmp_lt_u32 s[56:57], v11, s[sgprSizeJ]           // coord1 < size1
s_and_b64 s[56:57], s[54:55], s[56:57]             // in0 && in1
v_mul_lo_u32 v9, v9, s[sgprStrideD1J]              // coord1 element offset =  coord1 * StrideD
_v_add_lshl_u32 v9, v9, v10, 0x2                   // scale to BPE
v_cndmask_b32 v9, -1, v9, s[56:57]                 // clip if OOB. offset
_buffer_store_b32 v23, v9, s[sgprSrdD:sgprSrdD+3], 0, offen, offset:0 // store D
s_waitcnt lgkmcnt(0)                               // wait for LDS read
_v_add_u32 v11, v5, 6                              // coord1 += nColPerLoad
_v_add_u32 v10, v4, 0                              // coord0 += element index of load vector
_v_add_u32 v9, v6, 6                               // offset coord1 += nColPerLoad
v_cmp_lt_u32 s[54:55], v10, s[sgprSizeI]           // coord0 < size0
v_cmp_lt_u32 s[56:57], v11, s[sgprSizeJ]           // coord1 < size1
s_and_b64 s[56:57], s[54:55], s[56:57]             // in0 && in1
v_mul_lo_u32 v9, v9, s[sgprStrideD1J]              // coord1 element offset =  coord1 * StrideD
_v_add_lshl_u32 v9, v9, v10, 0x2                   // scale to BPE
v_cndmask_b32 v9, -1, v9, s[56:57]                 // clip if OOB. offset
_buffer_store_b32 v24, v9, s[sgprSrdD:sgprSrdD+3], 0, offen, offset:0 // store D
_v_add_u32 v11, v5, 6                              // coord1 += nColPerLoad
_v_add_u32 v10, v4, 1                              // coord0 += element index of load vector
_v_add_u32 v9, v6, 6                               // offset coord1 += nColPerLoad
v_cmp_lt_u32 s[54:55], v10, s[sgprSizeI]           // coord0 < size0
v_cmp_lt_u32 s[56:57], v11, s[sgprSizeJ]           // coord1 < size1
s_and_b64 s[56:57], s[54:55], s[56:57]             // in0 && in1
v_mul_lo_u32 v9, v9, s[sgprStrideD1J]              // coord1 element offset =  coord1 * StrideD
_v_add_lshl_u32 v9, v9, v10, 0x2                   // scale to BPE
v_cndmask_b32 v9, -1, v9, s[56:57]                 // clip if OOB. offset
_buffer_store_b32 v25, v9, s[sgprSrdD:sgprSrdD+3], 0, offen, offset:0 // store D
_v_add_u32 v11, v5, 6                              // coord1 += nColPerLoad
_v_add_u32 v10, v4, 2                              // coord0 += element index of load vector
_v_add_u32 v9, v6, 6                               // offset coord1 += nColPerLoad
v_cmp_lt_u32 s[54:55], v10, s[sgprSizeI]           // coord0 < size0
v_cmp_lt_u32 s[56:57], v11, s[sgprSizeJ]           // coord1 < size1
s_and_b64 s[56:57], s[54:55], s[56:57]             // in0 && in1
v_mul_lo_u32 v9, v9, s[sgprStrideD1J]              // coord1 element offset =  coord1 * StrideD
_v_add_lshl_u32 v9, v9, v10, 0x2                   // scale to BPE
v_cndmask_b32 v9, -1, v9, s[56:57]                 // clip if OOB. offset
_buffer_store_b32 v26, v9, s[sgprSrdD:sgprSrdD+3], 0, offen, offset:0 // store D
_v_add_u32 v11, v5, 6                              // coord1 += nColPerLoad
_v_add_u32 v10, v4, 3                              // coord0 += element index of load vector
_v_add_u32 v9, v6, 6                               // offset coord1 += nColPerLoad
v_cmp_lt_u32 s[54:55], v10, s[sgprSizeI]           // coord0 < size0
v_cmp_lt_u32 s[56:57], v11, s[sgprSizeJ]           // coord1 < size1
s_and_b64 s[56:57], s[54:55], s[56:57]             // in0 && in1
v_mul_lo_u32 v9, v9, s[sgprStrideD1J]              // coord1 element offset =  coord1 * StrideD
_v_add_lshl_u32 v9, v9, v10, 0x2                   // scale to BPE
v_cndmask_b32 v9, -1, v9, s[56:57]                 // clip if OOB. offset
_buffer_store_b32 v27, v9, s[sgprSrdD:sgprSrdD+3], 0, offen, offset:0 // store D

s_barrier //wait all lds read finished
s_nop 0                                            // 1 wait state required when next inst writes vgprs held by previous dwordx4 store inst
/* optSingleColVgpr=0 optSharedColVgpr=0 optSGPRUsage=BufferLoad_Edge_Mask optSrdIncForRow=1 */

/******************************************/
/* Global Write Alpha Beta Edge Batch #24 (d1,d0,vc1,vc0) = */
/*    (6,0,0,0:vw1); (6,0,0,1:vw1); (6,0,0,2:vw1); (6,0,0,3:vw1) */
/******************************************/

/* calc coords, apply mask, and issue loads (if necessary) */
/* (d1,vc1,d0,vc0)=(6,0,0,0) */
_v_add_co_u32 v1, vcc, v1, 32                      // coord1.1: coord1Vgpr += d1*sg1*VW + vc1
v_cmp_lt_u32 s[54:55], v0, s[sgprSizeI]            // coord0 < size0
v_cmp_lt_u32 s[58:59], v1, s[sgprSizeJ]            // coord1 < size1
s_and_b64 s[58:59], s[54:55], s[58:59]             // in0 && in1
_v_add_lshl_u32 v9, v2, v0, 0x2                    // scaleToBpe: accumulate d0 lower and *= bpe into Cin addr
v_cndmask_b32 v9, -1, v9, s[58:59]                 // LDC clip if OOB. offset
s_mul_i32 s54, s[sgprStrideC1J], 128               // scale StrideC *= numRows(32) * bpe
s_add_u32  s[sgprSrdC+0], s[sgprSrdC+0], s54       // incToNextRow: gra SRD += inc(lower)
s_addc_u32  s[sgprSrdC+1], s[sgprSrdC+1], 0        // incToNextRow: gra SRD += inc(upper)
_buffer_load_b32 v12, v9, s[sgprSrdC:sgprSrdC+3], 0, offen offset:0 // load C for beta calc
_v_add_lshl_u32 v9, v3, v0, 0x2                    // scaleToBpe: accumulate d0 lower and *= bpe into Cin addr
v_cndmask_b32 v9, -1, v9, s[58:59]                 // LDD clip if OOB. offset
/* (d1,vc1,d0,vc0)=(6,0,0,1) */
_v_add_co_u32 v10, vcc, v0, 1                      // coord0.1: coord0 += d0*sg0*VW + vc0
v_cmp_lt_u32 s[54:55], v10, s[sgprSizeI]           // coord0 < size0
v_cmp_lt_u32 s[58:59], v1, s[sgprSizeJ]            // coord1 < size1
s_and_b64 s[58:59], s[54:55], s[58:59]             // in0 && in1
_v_add_lshl_u32 v14, v2, v10, 0x2                  // scaleToBpe: accumulate d0 lower and *= bpe into Cin addr
v_cndmask_b32 v14, -1, v14, s[58:59]               // LDC clip if OOB. offset
_buffer_load_b32 v15, v14, s[sgprSrdC:sgprSrdC+3], 0, offen offset:0 // load C for beta calc
_v_add_lshl_u32 v14, v3, v10, 0x2                  // scaleToBpe: accumulate d0 lower and *= bpe into Cin addr
v_cndmask_b32 v14, -1, v14, s[58:59]               // LDD clip if OOB. offset
/* (d1,vc1,d0,vc0)=(6,0,0,2) */
_v_add_co_u32 v10, vcc, v0, 2                      // coord0.1: coord0 += d0*sg0*VW + vc0
v_cmp_lt_u32 s[54:55], v10, s[sgprSizeI]           // coord0 < size0
v_cmp_lt_u32 s[58:59], v1, s[sgprSizeJ]            // coord1 < size1
s_and_b64 s[58:59], s[54:55], s[58:59]             // in0 && in1
_v_add_lshl_u32 v17, v2, v10, 0x2                  // scaleToBpe: accumulate d0 lower and *= bpe into Cin addr
v_cndmask_b32 v17, -1, v17, s[58:59]               // LDC clip if OOB. offset
_buffer_load_b32 v18, v17, s[sgprSrdC:sgprSrdC+3], 0, offen offset:0 // load C for beta calc
_v_add_lshl_u32 v17, v3, v10, 0x2                  // scaleToBpe: accumulate d0 lower and *= bpe into Cin addr
v_cndmask_b32 v17, -1, v17, s[58:59]               // LDD clip if OOB. offset
	;; [unrolled: 10-line block ×3, first 2 shown]
v_accvgpr_read_b32 v[vgprValuC+13], acc96 // copy acc to vreg[96]
v_accvgpr_read_b32 v[vgprValuC+16], acc97 // copy acc to vreg[97]
v_accvgpr_read_b32 v[vgprValuC+19], acc98 // copy acc to vreg[98]
v_accvgpr_read_b32 v[vgprValuC+22], acc99 // copy acc to vreg[99]
s_nop 1                                            // 2 wait states required before reading vgpr

/* rC *= alpha batchElements=[(6, 0, 0, 0), (6, 0, 0, 1), (6, 0, 0, 2), (6, 0, 0, 3)] */
v_mul_lo_u32 v[vgprValuC+13], s[sgprAlpha], v[vgprValuC+13] // *= alpha
v_mul_lo_u32 v[vgprValuC+16], s[sgprAlpha], v[vgprValuC+16] // *= alpha
	;; [unrolled: 1-line block ×4, first 2 shown]
s_waitcnt vmcnt(0)                                 // wait C

/* apply mask, calc new C and issue writes */

/* StoreRemap: shift coord1 address */
s_mul_i32 s54, s[sgprStrideD1J], 128               // scale StrideD *= numRows(32) * bpe
s_add_u32  s[sgprSrdD+0], s[sgprSrdD+0], s54       // incToNextRow: gra SRD += inc(lower)
s_addc_u32  s[sgprSrdD+1], s[sgprSrdD+1], 0        // incToNextRow: gra SRD += inc(upper)
v_mov_b32 v10, 32                                  // set shift rows
_v_add_u32 v5, v5, v10                             // shift storeRemap coord1
v_mul_lo_u32 v12, s[sgprBeta], v12                 // C = C*beta
_v_add_u32 v[vgprValuC+13], v12, v[vgprValuC+13]   // finalSum = sum*alpha + C*beta
_ds_store_b32 v7, v13, offset:0                    // storeRemap lw
v_mul_lo_u32 v15, s[sgprBeta], v15                 // C = C*beta
_v_add_u32 v[vgprValuC+16], v15, v[vgprValuC+16]   // finalSum = sum*alpha + C*beta
_ds_store_b32 v7, v16, offset:4                    // storeRemap lw
	;; [unrolled: 3-line block ×3, first 2 shown]
v_mul_lo_u32 v21, s[sgprBeta], v21                 // C = C*beta
_v_add_u32 v[vgprValuC+22], v21, v[vgprValuC+22]   // finalSum = sum*alpha + C*beta
_ds_store_b32 v7, v22, offset:12                   // storeRemap lw
s_nop 0                                            // 1 wait state required when next inst writes vgprs held by previous dwordx4 store inst
/* optSingleColVgpr=0 optSharedColVgpr=0 optSGPRUsage=BufferLoad_Edge_Mask optSrdIncForRow=1 */

/******************************************/
/* Global Write Alpha Beta Edge Batch #25 (d1,d0,vc1,vc0) = */
/*    (6,1,0,0:vw1); (6,1,0,1:vw1); (6,1,0,2:vw1); (6,1,0,3:vw1) */
/******************************************/

/* calc coords, apply mask, and issue loads (if necessary) */
/* (d1,vc1,d0,vc0)=(6,0,1,0) */
_v_add_co_u32 v10, vcc, v0, 8                      // coord0.1: coord0 += d0*sg0*VW + vc0
v_cmp_lt_u32 s[54:55], v10, s[sgprSizeI]           // coord0 < size0
v_cmp_lt_u32 s[58:59], v1, s[sgprSizeJ]            // coord1 < size1
s_and_b64 s[58:59], s[54:55], s[58:59]             // in0 && in1
_v_add_lshl_u32 v9, v2, v10, 0x2                   // scaleToBpe: accumulate d0 lower and *= bpe into Cin addr
v_cndmask_b32 v9, -1, v9, s[58:59]                 // LDC clip if OOB. offset
_buffer_load_b32 v12, v9, s[sgprSrdC:sgprSrdC+3], 0, offen offset:0 // load C for beta calc
_v_add_lshl_u32 v9, v3, v10, 0x2                   // scaleToBpe: accumulate d0 lower and *= bpe into Cin addr
v_cndmask_b32 v9, -1, v9, s[58:59]                 // LDD clip if OOB. offset
/* (d1,vc1,d0,vc0)=(6,0,1,1) */
_v_add_co_u32 v10, vcc, v0, 9                      // coord0.1: coord0 += d0*sg0*VW + vc0
v_cmp_lt_u32 s[54:55], v10, s[sgprSizeI]           // coord0 < size0
v_cmp_lt_u32 s[58:59], v1, s[sgprSizeJ]            // coord1 < size1
s_and_b64 s[58:59], s[54:55], s[58:59]             // in0 && in1
_v_add_lshl_u32 v14, v2, v10, 0x2                  // scaleToBpe: accumulate d0 lower and *= bpe into Cin addr
v_cndmask_b32 v14, -1, v14, s[58:59]               // LDC clip if OOB. offset
_buffer_load_b32 v15, v14, s[sgprSrdC:sgprSrdC+3], 0, offen offset:0 // load C for beta calc
_v_add_lshl_u32 v14, v3, v10, 0x2                  // scaleToBpe: accumulate d0 lower and *= bpe into Cin addr
v_cndmask_b32 v14, -1, v14, s[58:59]               // LDD clip if OOB. offset
/* (d1,vc1,d0,vc0)=(6,0,1,2) */
_v_add_co_u32 v10, vcc, v0, 10                     // coord0.1: coord0 += d0*sg0*VW + vc0
v_cmp_lt_u32 s[54:55], v10, s[sgprSizeI]           // coord0 < size0
v_cmp_lt_u32 s[58:59], v1, s[sgprSizeJ]            // coord1 < size1
s_and_b64 s[58:59], s[54:55], s[58:59]             // in0 && in1
_v_add_lshl_u32 v17, v2, v10, 0x2                  // scaleToBpe: accumulate d0 lower and *= bpe into Cin addr
v_cndmask_b32 v17, -1, v17, s[58:59]               // LDC clip if OOB. offset
_buffer_load_b32 v18, v17, s[sgprSrdC:sgprSrdC+3], 0, offen offset:0 // load C for beta calc
_v_add_lshl_u32 v17, v3, v10, 0x2                  // scaleToBpe: accumulate d0 lower and *= bpe into Cin addr
v_cndmask_b32 v17, -1, v17, s[58:59]               // LDD clip if OOB. offset
/* (d1,vc1,d0,vc0)=(6,0,1,3) */
_v_add_co_u32 v10, vcc, v0, 11                     // coord0.1: coord0 += d0*sg0*VW + vc0
v_cmp_lt_u32 s[54:55], v10, s[sgprSizeI]           // coord0 < size0
v_cmp_lt_u32 s[58:59], v1, s[sgprSizeJ]            // coord1 < size1
s_and_b64 s[58:59], s[54:55], s[58:59]             // in0 && in1
_v_add_lshl_u32 v20, v2, v10, 0x2                  // scaleToBpe: accumulate d0 lower and *= bpe into Cin addr
v_cndmask_b32 v20, -1, v20, s[58:59]               // LDC clip if OOB. offset
_buffer_load_b32 v21, v20, s[sgprSrdC:sgprSrdC+3], 0, offen offset:0 // load C for beta calc
_v_add_lshl_u32 v20, v3, v10, 0x2                  // scaleToBpe: accumulate d0 lower and *= bpe into Cin addr
v_cndmask_b32 v20, -1, v20, s[58:59]               // LDD clip if OOB. offset
v_accvgpr_read_b32 v[vgprValuC+13], acc100 // copy acc to vreg[100]
v_accvgpr_read_b32 v[vgprValuC+16], acc101 // copy acc to vreg[101]
v_accvgpr_read_b32 v[vgprValuC+19], acc102 // copy acc to vreg[102]
v_accvgpr_read_b32 v[vgprValuC+22], acc103 // copy acc to vreg[103]
s_nop 1                                            // 2 wait states required before reading vgpr

/* rC *= alpha batchElements=[(6, 1, 0, 0), (6, 1, 0, 1), (6, 1, 0, 2), (6, 1, 0, 3)] */
v_mul_lo_u32 v[vgprValuC+13], s[sgprAlpha], v[vgprValuC+13] // *= alpha
v_mul_lo_u32 v[vgprValuC+16], s[sgprAlpha], v[vgprValuC+16] // *= alpha
v_mul_lo_u32 v[vgprValuC+19], s[sgprAlpha], v[vgprValuC+19] // *= alpha
v_mul_lo_u32 v[vgprValuC+22], s[sgprAlpha], v[vgprValuC+22] // *= alpha
s_waitcnt vmcnt(0)                                 // wait C

/* apply mask, calc new C and issue writes */
v_mul_lo_u32 v12, s[sgprBeta], v12                 // C = C*beta
_v_add_u32 v[vgprValuC+13], v12, v[vgprValuC+13]   // finalSum = sum*alpha + C*beta
_ds_store_b32 v7, v13, offset:32                   // storeRemap lw
v_mul_lo_u32 v15, s[sgprBeta], v15                 // C = C*beta
_v_add_u32 v[vgprValuC+16], v15, v[vgprValuC+16]   // finalSum = sum*alpha + C*beta
_ds_store_b32 v7, v16, offset:36                   // storeRemap lw
	;; [unrolled: 3-line block ×4, first 2 shown]
s_nop 0                                            // 1 wait state required when next inst writes vgprs held by previous dwordx4 store inst
/* optSingleColVgpr=0 optSharedColVgpr=0 optSGPRUsage=BufferLoad_Edge_Mask optSrdIncForRow=1 */

/******************************************/
/* Global Write Alpha Beta Edge Batch #26 (d1,d0,vc1,vc0) = */
/*    (6,2,0,0:vw1); (6,2,0,1:vw1); (6,2,0,2:vw1); (6,2,0,3:vw1) */
/******************************************/

/* calc coords, apply mask, and issue loads (if necessary) */
/* (d1,vc1,d0,vc0)=(6,0,2,0) */
_v_add_co_u32 v10, vcc, v0, 16                     // coord0.1: coord0 += d0*sg0*VW + vc0
v_cmp_lt_u32 s[54:55], v10, s[sgprSizeI]           // coord0 < size0
v_cmp_lt_u32 s[58:59], v1, s[sgprSizeJ]            // coord1 < size1
s_and_b64 s[58:59], s[54:55], s[58:59]             // in0 && in1
_v_add_lshl_u32 v9, v2, v10, 0x2                   // scaleToBpe: accumulate d0 lower and *= bpe into Cin addr
v_cndmask_b32 v9, -1, v9, s[58:59]                 // LDC clip if OOB. offset
_buffer_load_b32 v12, v9, s[sgprSrdC:sgprSrdC+3], 0, offen offset:0 // load C for beta calc
_v_add_lshl_u32 v9, v3, v10, 0x2                   // scaleToBpe: accumulate d0 lower and *= bpe into Cin addr
v_cndmask_b32 v9, -1, v9, s[58:59]                 // LDD clip if OOB. offset
/* (d1,vc1,d0,vc0)=(6,0,2,1) */
_v_add_co_u32 v10, vcc, v0, 17                     // coord0.1: coord0 += d0*sg0*VW + vc0
v_cmp_lt_u32 s[54:55], v10, s[sgprSizeI]           // coord0 < size0
v_cmp_lt_u32 s[58:59], v1, s[sgprSizeJ]            // coord1 < size1
s_and_b64 s[58:59], s[54:55], s[58:59]             // in0 && in1
_v_add_lshl_u32 v14, v2, v10, 0x2                  // scaleToBpe: accumulate d0 lower and *= bpe into Cin addr
v_cndmask_b32 v14, -1, v14, s[58:59]               // LDC clip if OOB. offset
_buffer_load_b32 v15, v14, s[sgprSrdC:sgprSrdC+3], 0, offen offset:0 // load C for beta calc
_v_add_lshl_u32 v14, v3, v10, 0x2                  // scaleToBpe: accumulate d0 lower and *= bpe into Cin addr
v_cndmask_b32 v14, -1, v14, s[58:59]               // LDD clip if OOB. offset
/* (d1,vc1,d0,vc0)=(6,0,2,2) */
_v_add_co_u32 v10, vcc, v0, 18                     // coord0.1: coord0 += d0*sg0*VW + vc0
v_cmp_lt_u32 s[54:55], v10, s[sgprSizeI]           // coord0 < size0
v_cmp_lt_u32 s[58:59], v1, s[sgprSizeJ]            // coord1 < size1
s_and_b64 s[58:59], s[54:55], s[58:59]             // in0 && in1
_v_add_lshl_u32 v17, v2, v10, 0x2                  // scaleToBpe: accumulate d0 lower and *= bpe into Cin addr
v_cndmask_b32 v17, -1, v17, s[58:59]               // LDC clip if OOB. offset
_buffer_load_b32 v18, v17, s[sgprSrdC:sgprSrdC+3], 0, offen offset:0 // load C for beta calc
_v_add_lshl_u32 v17, v3, v10, 0x2                  // scaleToBpe: accumulate d0 lower and *= bpe into Cin addr
v_cndmask_b32 v17, -1, v17, s[58:59]               // LDD clip if OOB. offset
	;; [unrolled: 10-line block ×3, first 2 shown]
v_accvgpr_read_b32 v[vgprValuC+13], acc104 // copy acc to vreg[104]
v_accvgpr_read_b32 v[vgprValuC+16], acc105 // copy acc to vreg[105]
v_accvgpr_read_b32 v[vgprValuC+19], acc106 // copy acc to vreg[106]
v_accvgpr_read_b32 v[vgprValuC+22], acc107 // copy acc to vreg[107]
s_nop 1                                            // 2 wait states required before reading vgpr

/* rC *= alpha batchElements=[(6, 2, 0, 0), (6, 2, 0, 1), (6, 2, 0, 2), (6, 2, 0, 3)] */
v_mul_lo_u32 v[vgprValuC+13], s[sgprAlpha], v[vgprValuC+13] // *= alpha
v_mul_lo_u32 v[vgprValuC+16], s[sgprAlpha], v[vgprValuC+16] // *= alpha
	;; [unrolled: 1-line block ×4, first 2 shown]
s_waitcnt vmcnt(0)                                 // wait C

/* apply mask, calc new C and issue writes */
v_mul_lo_u32 v12, s[sgprBeta], v12                 // C = C*beta
_v_add_u32 v[vgprValuC+13], v12, v[vgprValuC+13]   // finalSum = sum*alpha + C*beta
_ds_store_b32 v7, v13, offset:64                   // storeRemap lw
v_mul_lo_u32 v15, s[sgprBeta], v15                 // C = C*beta
_v_add_u32 v[vgprValuC+16], v15, v[vgprValuC+16]   // finalSum = sum*alpha + C*beta
_ds_store_b32 v7, v16, offset:68                   // storeRemap lw
	;; [unrolled: 3-line block ×4, first 2 shown]
s_nop 0                                            // 1 wait state required when next inst writes vgprs held by previous dwordx4 store inst
/* optSingleColVgpr=0 optSharedColVgpr=0 optSGPRUsage=BufferLoad_Edge_Mask optSrdIncForRow=1 */

/******************************************/
/* Global Write Alpha Beta Edge Batch #27 (d1,d0,vc1,vc0) = */
/*    (6,3,0,0:vw1); (6,3,0,1:vw1); (6,3,0,2:vw1); (6,3,0,3:vw1) */
/******************************************/

/* calc coords, apply mask, and issue loads (if necessary) */
/* (d1,vc1,d0,vc0)=(6,0,3,0) */
_v_add_co_u32 v10, vcc, v0, 24                     // coord0.1: coord0 += d0*sg0*VW + vc0
v_cmp_lt_u32 s[54:55], v10, s[sgprSizeI]           // coord0 < size0
v_cmp_lt_u32 s[58:59], v1, s[sgprSizeJ]            // coord1 < size1
s_and_b64 s[58:59], s[54:55], s[58:59]             // in0 && in1
_v_add_lshl_u32 v9, v2, v10, 0x2                   // scaleToBpe: accumulate d0 lower and *= bpe into Cin addr
v_cndmask_b32 v9, -1, v9, s[58:59]                 // LDC clip if OOB. offset
_buffer_load_b32 v12, v9, s[sgprSrdC:sgprSrdC+3], 0, offen offset:0 // load C for beta calc
_v_add_lshl_u32 v9, v3, v10, 0x2                   // scaleToBpe: accumulate d0 lower and *= bpe into Cin addr
v_cndmask_b32 v9, -1, v9, s[58:59]                 // LDD clip if OOB. offset
/* (d1,vc1,d0,vc0)=(6,0,3,1) */
_v_add_co_u32 v10, vcc, v0, 25                     // coord0.1: coord0 += d0*sg0*VW + vc0
v_cmp_lt_u32 s[54:55], v10, s[sgprSizeI]           // coord0 < size0
v_cmp_lt_u32 s[58:59], v1, s[sgprSizeJ]            // coord1 < size1
s_and_b64 s[58:59], s[54:55], s[58:59]             // in0 && in1
_v_add_lshl_u32 v14, v2, v10, 0x2                  // scaleToBpe: accumulate d0 lower and *= bpe into Cin addr
v_cndmask_b32 v14, -1, v14, s[58:59]               // LDC clip if OOB. offset
_buffer_load_b32 v15, v14, s[sgprSrdC:sgprSrdC+3], 0, offen offset:0 // load C for beta calc
_v_add_lshl_u32 v14, v3, v10, 0x2                  // scaleToBpe: accumulate d0 lower and *= bpe into Cin addr
v_cndmask_b32 v14, -1, v14, s[58:59]               // LDD clip if OOB. offset
/* (d1,vc1,d0,vc0)=(6,0,3,2) */
_v_add_co_u32 v10, vcc, v0, 26                     // coord0.1: coord0 += d0*sg0*VW + vc0
v_cmp_lt_u32 s[54:55], v10, s[sgprSizeI]           // coord0 < size0
v_cmp_lt_u32 s[58:59], v1, s[sgprSizeJ]            // coord1 < size1
s_and_b64 s[58:59], s[54:55], s[58:59]             // in0 && in1
_v_add_lshl_u32 v17, v2, v10, 0x2                  // scaleToBpe: accumulate d0 lower and *= bpe into Cin addr
v_cndmask_b32 v17, -1, v17, s[58:59]               // LDC clip if OOB. offset
_buffer_load_b32 v18, v17, s[sgprSrdC:sgprSrdC+3], 0, offen offset:0 // load C for beta calc
_v_add_lshl_u32 v17, v3, v10, 0x2                  // scaleToBpe: accumulate d0 lower and *= bpe into Cin addr
v_cndmask_b32 v17, -1, v17, s[58:59]               // LDD clip if OOB. offset
	;; [unrolled: 10-line block ×3, first 2 shown]
v_accvgpr_read_b32 v[vgprValuC+13], acc108 // copy acc to vreg[108]
v_accvgpr_read_b32 v[vgprValuC+16], acc109 // copy acc to vreg[109]
v_accvgpr_read_b32 v[vgprValuC+19], acc110 // copy acc to vreg[110]
v_accvgpr_read_b32 v[vgprValuC+22], acc111 // copy acc to vreg[111]
s_nop 1                                            // 2 wait states required before reading vgpr

/* rC *= alpha batchElements=[(6, 3, 0, 0), (6, 3, 0, 1), (6, 3, 0, 2), (6, 3, 0, 3)] */
v_mul_lo_u32 v[vgprValuC+13], s[sgprAlpha], v[vgprValuC+13] // *= alpha
v_mul_lo_u32 v[vgprValuC+16], s[sgprAlpha], v[vgprValuC+16] // *= alpha
	;; [unrolled: 1-line block ×4, first 2 shown]
s_waitcnt vmcnt(0)                                 // wait C

/* apply mask, calc new C and issue writes */
v_mul_lo_u32 v12, s[sgprBeta], v12                 // C = C*beta
_v_add_u32 v[vgprValuC+13], v12, v[vgprValuC+13]   // finalSum = sum*alpha + C*beta
_ds_store_b32 v7, v13, offset:96                   // storeRemap lw
v_mul_lo_u32 v15, s[sgprBeta], v15                 // C = C*beta
_v_add_u32 v[vgprValuC+16], v15, v[vgprValuC+16]   // finalSum = sum*alpha + C*beta
_ds_store_b32 v7, v16, offset:100                  // storeRemap lw
v_mul_lo_u32 v18, s[sgprBeta], v18                 // C = C*beta
_v_add_u32 v[vgprValuC+19], v18, v[vgprValuC+19]   // finalSum = sum*alpha + C*beta
_ds_store_b32 v7, v19, offset:104                  // storeRemap lw
	;; [unrolled: 3-line block ×3, first 2 shown]

/* Handle local read and global write */
s_waitcnt lgkmcnt(0)                               // wait for LDS write
s_barrier //wait all lds write finished

_ds_load_b128 v[12:15], v8, offset:0               // storeRemap lr
_ds_load_b128 v[16:19], v8, offset:1056            // storeRemap lr
_ds_load_b128 v[20:23], v8, offset:2112            // storeRemap lr
_ds_load_b128 v[24:27], v8, offset:3168            // storeRemap lr

s_waitcnt lgkmcnt(3)                               // wait for LDS read
_v_add_u32 v11, v5, 0                              // coord1 += nColPerLoad
_v_add_u32 v10, v4, 0                              // coord0 += element index of load vector
_v_add_u32 v9, v6, 0                               // offset coord1 += nColPerLoad
v_cmp_lt_u32 s[54:55], v10, s[sgprSizeI]           // coord0 < size0
v_cmp_lt_u32 s[56:57], v11, s[sgprSizeJ]           // coord1 < size1
s_and_b64 s[56:57], s[54:55], s[56:57]             // in0 && in1
v_mul_lo_u32 v9, v9, s[sgprStrideD1J]              // coord1 element offset =  coord1 * StrideD
_v_add_lshl_u32 v9, v9, v10, 0x2                   // scale to BPE
v_cndmask_b32 v9, -1, v9, s[56:57]                 // clip if OOB. offset
_buffer_store_b32 v12, v9, s[sgprSrdD:sgprSrdD+3], 0, offen, offset:0 // store D
_v_add_u32 v11, v5, 0                              // coord1 += nColPerLoad
_v_add_u32 v10, v4, 1                              // coord0 += element index of load vector
_v_add_u32 v9, v6, 0                               // offset coord1 += nColPerLoad
v_cmp_lt_u32 s[54:55], v10, s[sgprSizeI]           // coord0 < size0
v_cmp_lt_u32 s[56:57], v11, s[sgprSizeJ]           // coord1 < size1
s_and_b64 s[56:57], s[54:55], s[56:57]             // in0 && in1
v_mul_lo_u32 v9, v9, s[sgprStrideD1J]              // coord1 element offset =  coord1 * StrideD
_v_add_lshl_u32 v9, v9, v10, 0x2                   // scale to BPE
v_cndmask_b32 v9, -1, v9, s[56:57]                 // clip if OOB. offset
_buffer_store_b32 v13, v9, s[sgprSrdD:sgprSrdD+3], 0, offen, offset:0 // store D
_v_add_u32 v11, v5, 0                              // coord1 += nColPerLoad
_v_add_u32 v10, v4, 2                              // coord0 += element index of load vector
_v_add_u32 v9, v6, 0                               // offset coord1 += nColPerLoad
v_cmp_lt_u32 s[54:55], v10, s[sgprSizeI]           // coord0 < size0
v_cmp_lt_u32 s[56:57], v11, s[sgprSizeJ]           // coord1 < size1
s_and_b64 s[56:57], s[54:55], s[56:57]             // in0 && in1
v_mul_lo_u32 v9, v9, s[sgprStrideD1J]              // coord1 element offset =  coord1 * StrideD
_v_add_lshl_u32 v9, v9, v10, 0x2                   // scale to BPE
v_cndmask_b32 v9, -1, v9, s[56:57]                 // clip if OOB. offset
_buffer_store_b32 v14, v9, s[sgprSrdD:sgprSrdD+3], 0, offen, offset:0 // store D
_v_add_u32 v11, v5, 0                              // coord1 += nColPerLoad
_v_add_u32 v10, v4, 3                              // coord0 += element index of load vector
_v_add_u32 v9, v6, 0                               // offset coord1 += nColPerLoad
v_cmp_lt_u32 s[54:55], v10, s[sgprSizeI]           // coord0 < size0
v_cmp_lt_u32 s[56:57], v11, s[sgprSizeJ]           // coord1 < size1
s_and_b64 s[56:57], s[54:55], s[56:57]             // in0 && in1
v_mul_lo_u32 v9, v9, s[sgprStrideD1J]              // coord1 element offset =  coord1 * StrideD
_v_add_lshl_u32 v9, v9, v10, 0x2                   // scale to BPE
v_cndmask_b32 v9, -1, v9, s[56:57]                 // clip if OOB. offset
_buffer_store_b32 v15, v9, s[sgprSrdD:sgprSrdD+3], 0, offen, offset:0 // store D
s_waitcnt lgkmcnt(2)                               // wait for LDS read
_v_add_u32 v11, v5, 2                              // coord1 += nColPerLoad
_v_add_u32 v10, v4, 0                              // coord0 += element index of load vector
_v_add_u32 v9, v6, 2                               // offset coord1 += nColPerLoad
v_cmp_lt_u32 s[54:55], v10, s[sgprSizeI]           // coord0 < size0
v_cmp_lt_u32 s[56:57], v11, s[sgprSizeJ]           // coord1 < size1
s_and_b64 s[56:57], s[54:55], s[56:57]             // in0 && in1
v_mul_lo_u32 v9, v9, s[sgprStrideD1J]              // coord1 element offset =  coord1 * StrideD
_v_add_lshl_u32 v9, v9, v10, 0x2                   // scale to BPE
v_cndmask_b32 v9, -1, v9, s[56:57]                 // clip if OOB. offset
_buffer_store_b32 v16, v9, s[sgprSrdD:sgprSrdD+3], 0, offen, offset:0 // store D
_v_add_u32 v11, v5, 2                              // coord1 += nColPerLoad
_v_add_u32 v10, v4, 1                              // coord0 += element index of load vector
_v_add_u32 v9, v6, 2                               // offset coord1 += nColPerLoad
v_cmp_lt_u32 s[54:55], v10, s[sgprSizeI]           // coord0 < size0
v_cmp_lt_u32 s[56:57], v11, s[sgprSizeJ]           // coord1 < size1
s_and_b64 s[56:57], s[54:55], s[56:57]             // in0 && in1
v_mul_lo_u32 v9, v9, s[sgprStrideD1J]              // coord1 element offset =  coord1 * StrideD
_v_add_lshl_u32 v9, v9, v10, 0x2                   // scale to BPE
v_cndmask_b32 v9, -1, v9, s[56:57]                 // clip if OOB. offset
_buffer_store_b32 v17, v9, s[sgprSrdD:sgprSrdD+3], 0, offen, offset:0 // store D
_v_add_u32 v11, v5, 2                              // coord1 += nColPerLoad
_v_add_u32 v10, v4, 2                              // coord0 += element index of load vector
_v_add_u32 v9, v6, 2                               // offset coord1 += nColPerLoad
v_cmp_lt_u32 s[54:55], v10, s[sgprSizeI]           // coord0 < size0
v_cmp_lt_u32 s[56:57], v11, s[sgprSizeJ]           // coord1 < size1
s_and_b64 s[56:57], s[54:55], s[56:57]             // in0 && in1
v_mul_lo_u32 v9, v9, s[sgprStrideD1J]              // coord1 element offset =  coord1 * StrideD
_v_add_lshl_u32 v9, v9, v10, 0x2                   // scale to BPE
v_cndmask_b32 v9, -1, v9, s[56:57]                 // clip if OOB. offset
_buffer_store_b32 v18, v9, s[sgprSrdD:sgprSrdD+3], 0, offen, offset:0 // store D
_v_add_u32 v11, v5, 2                              // coord1 += nColPerLoad
_v_add_u32 v10, v4, 3                              // coord0 += element index of load vector
_v_add_u32 v9, v6, 2                               // offset coord1 += nColPerLoad
v_cmp_lt_u32 s[54:55], v10, s[sgprSizeI]           // coord0 < size0
v_cmp_lt_u32 s[56:57], v11, s[sgprSizeJ]           // coord1 < size1
s_and_b64 s[56:57], s[54:55], s[56:57]             // in0 && in1
v_mul_lo_u32 v9, v9, s[sgprStrideD1J]              // coord1 element offset =  coord1 * StrideD
_v_add_lshl_u32 v9, v9, v10, 0x2                   // scale to BPE
v_cndmask_b32 v9, -1, v9, s[56:57]                 // clip if OOB. offset
_buffer_store_b32 v19, v9, s[sgprSrdD:sgprSrdD+3], 0, offen, offset:0 // store D
	;; [unrolled: 41-line block ×4, first 2 shown]

s_barrier //wait all lds read finished
s_nop 0                                            // 1 wait state required when next inst writes vgprs held by previous dwordx4 store inst
/* optSingleColVgpr=0 optSharedColVgpr=0 optSGPRUsage=BufferLoad_Edge_Mask optSrdIncForRow=1 */

/******************************************/
/* Global Write Alpha Beta Edge Batch #28 (d1,d0,vc1,vc0) = */
/*    (7,0,0,0:vw1); (7,0,0,1:vw1); (7,0,0,2:vw1); (7,0,0,3:vw1) */
/******************************************/

/* calc coords, apply mask, and issue loads (if necessary) */
/* (d1,vc1,d0,vc0)=(7,0,0,0) */
_v_add_co_u32 v1, vcc, v1, 32                      // coord1.1: coord1Vgpr += d1*sg1*VW + vc1
v_cmp_lt_u32 s[54:55], v0, s[sgprSizeI]            // coord0 < size0
v_cmp_lt_u32 s[58:59], v1, s[sgprSizeJ]            // coord1 < size1
s_and_b64 s[58:59], s[54:55], s[58:59]             // in0 && in1
_v_add_lshl_u32 v9, v2, v0, 0x2                    // scaleToBpe: accumulate d0 lower and *= bpe into Cin addr
v_cndmask_b32 v9, -1, v9, s[58:59]                 // LDC clip if OOB. offset
s_mul_i32 s54, s[sgprStrideC1J], 128               // scale StrideC *= numRows(32) * bpe
s_add_u32  s[sgprSrdC+0], s[sgprSrdC+0], s54       // incToNextRow: gra SRD += inc(lower)
s_addc_u32  s[sgprSrdC+1], s[sgprSrdC+1], 0        // incToNextRow: gra SRD += inc(upper)
_buffer_load_b32 v12, v9, s[sgprSrdC:sgprSrdC+3], 0, offen offset:0 // load C for beta calc
_v_add_lshl_u32 v9, v3, v0, 0x2                    // scaleToBpe: accumulate d0 lower and *= bpe into Cin addr
v_cndmask_b32 v9, -1, v9, s[58:59]                 // LDD clip if OOB. offset
/* (d1,vc1,d0,vc0)=(7,0,0,1) */
_v_add_co_u32 v10, vcc, v0, 1                      // coord0.1: coord0 += d0*sg0*VW + vc0
v_cmp_lt_u32 s[54:55], v10, s[sgprSizeI]           // coord0 < size0
v_cmp_lt_u32 s[58:59], v1, s[sgprSizeJ]            // coord1 < size1
s_and_b64 s[58:59], s[54:55], s[58:59]             // in0 && in1
_v_add_lshl_u32 v14, v2, v10, 0x2                  // scaleToBpe: accumulate d0 lower and *= bpe into Cin addr
v_cndmask_b32 v14, -1, v14, s[58:59]               // LDC clip if OOB. offset
_buffer_load_b32 v15, v14, s[sgprSrdC:sgprSrdC+3], 0, offen offset:0 // load C for beta calc
_v_add_lshl_u32 v14, v3, v10, 0x2                  // scaleToBpe: accumulate d0 lower and *= bpe into Cin addr
v_cndmask_b32 v14, -1, v14, s[58:59]               // LDD clip if OOB. offset
/* (d1,vc1,d0,vc0)=(7,0,0,2) */
_v_add_co_u32 v10, vcc, v0, 2                      // coord0.1: coord0 += d0*sg0*VW + vc0
v_cmp_lt_u32 s[54:55], v10, s[sgprSizeI]           // coord0 < size0
v_cmp_lt_u32 s[58:59], v1, s[sgprSizeJ]            // coord1 < size1
s_and_b64 s[58:59], s[54:55], s[58:59]             // in0 && in1
_v_add_lshl_u32 v17, v2, v10, 0x2                  // scaleToBpe: accumulate d0 lower and *= bpe into Cin addr
v_cndmask_b32 v17, -1, v17, s[58:59]               // LDC clip if OOB. offset
_buffer_load_b32 v18, v17, s[sgprSrdC:sgprSrdC+3], 0, offen offset:0 // load C for beta calc
_v_add_lshl_u32 v17, v3, v10, 0x2                  // scaleToBpe: accumulate d0 lower and *= bpe into Cin addr
v_cndmask_b32 v17, -1, v17, s[58:59]               // LDD clip if OOB. offset
	;; [unrolled: 10-line block ×3, first 2 shown]
v_accvgpr_read_b32 v[vgprValuC+13], acc112 // copy acc to vreg[112]
v_accvgpr_read_b32 v[vgprValuC+16], acc113 // copy acc to vreg[113]
v_accvgpr_read_b32 v[vgprValuC+19], acc114 // copy acc to vreg[114]
v_accvgpr_read_b32 v[vgprValuC+22], acc115 // copy acc to vreg[115]
s_nop 1                                            // 2 wait states required before reading vgpr

/* rC *= alpha batchElements=[(7, 0, 0, 0), (7, 0, 0, 1), (7, 0, 0, 2), (7, 0, 0, 3)] */
v_mul_lo_u32 v[vgprValuC+13], s[sgprAlpha], v[vgprValuC+13] // *= alpha
v_mul_lo_u32 v[vgprValuC+16], s[sgprAlpha], v[vgprValuC+16] // *= alpha
	;; [unrolled: 1-line block ×4, first 2 shown]
s_waitcnt vmcnt(0)                                 // wait C

/* apply mask, calc new C and issue writes */

/* StoreRemap: shift coord1 address */
s_mul_i32 s54, s[sgprStrideD1J], 128               // scale StrideD *= numRows(32) * bpe
s_add_u32  s[sgprSrdD+0], s[sgprSrdD+0], s54       // incToNextRow: gra SRD += inc(lower)
s_addc_u32  s[sgprSrdD+1], s[sgprSrdD+1], 0        // incToNextRow: gra SRD += inc(upper)
v_mov_b32 v10, 32                                  // set shift rows
_v_add_u32 v5, v5, v10                             // shift storeRemap coord1
v_mul_lo_u32 v12, s[sgprBeta], v12                 // C = C*beta
_v_add_u32 v[vgprValuC+13], v12, v[vgprValuC+13]   // finalSum = sum*alpha + C*beta
_ds_store_b32 v7, v13, offset:0                    // storeRemap lw
v_mul_lo_u32 v15, s[sgprBeta], v15                 // C = C*beta
_v_add_u32 v[vgprValuC+16], v15, v[vgprValuC+16]   // finalSum = sum*alpha + C*beta
_ds_store_b32 v7, v16, offset:4                    // storeRemap lw
v_mul_lo_u32 v18, s[sgprBeta], v18                 // C = C*beta
_v_add_u32 v[vgprValuC+19], v18, v[vgprValuC+19]   // finalSum = sum*alpha + C*beta
_ds_store_b32 v7, v19, offset:8                    // storeRemap lw
v_mul_lo_u32 v21, s[sgprBeta], v21                 // C = C*beta
_v_add_u32 v[vgprValuC+22], v21, v[vgprValuC+22]   // finalSum = sum*alpha + C*beta
_ds_store_b32 v7, v22, offset:12                   // storeRemap lw
s_nop 0                                            // 1 wait state required when next inst writes vgprs held by previous dwordx4 store inst
/* optSingleColVgpr=0 optSharedColVgpr=0 optSGPRUsage=BufferLoad_Edge_Mask optSrdIncForRow=1 */

/******************************************/
/* Global Write Alpha Beta Edge Batch #29 (d1,d0,vc1,vc0) = */
/*    (7,1,0,0:vw1); (7,1,0,1:vw1); (7,1,0,2:vw1); (7,1,0,3:vw1) */
/******************************************/

/* calc coords, apply mask, and issue loads (if necessary) */
/* (d1,vc1,d0,vc0)=(7,0,1,0) */
_v_add_co_u32 v10, vcc, v0, 8                      // coord0.1: coord0 += d0*sg0*VW + vc0
v_cmp_lt_u32 s[54:55], v10, s[sgprSizeI]           // coord0 < size0
v_cmp_lt_u32 s[58:59], v1, s[sgprSizeJ]            // coord1 < size1
s_and_b64 s[58:59], s[54:55], s[58:59]             // in0 && in1
_v_add_lshl_u32 v9, v2, v10, 0x2                   // scaleToBpe: accumulate d0 lower and *= bpe into Cin addr
v_cndmask_b32 v9, -1, v9, s[58:59]                 // LDC clip if OOB. offset
_buffer_load_b32 v12, v9, s[sgprSrdC:sgprSrdC+3], 0, offen offset:0 // load C for beta calc
_v_add_lshl_u32 v9, v3, v10, 0x2                   // scaleToBpe: accumulate d0 lower and *= bpe into Cin addr
v_cndmask_b32 v9, -1, v9, s[58:59]                 // LDD clip if OOB. offset
/* (d1,vc1,d0,vc0)=(7,0,1,1) */
_v_add_co_u32 v10, vcc, v0, 9                      // coord0.1: coord0 += d0*sg0*VW + vc0
v_cmp_lt_u32 s[54:55], v10, s[sgprSizeI]           // coord0 < size0
v_cmp_lt_u32 s[58:59], v1, s[sgprSizeJ]            // coord1 < size1
s_and_b64 s[58:59], s[54:55], s[58:59]             // in0 && in1
_v_add_lshl_u32 v14, v2, v10, 0x2                  // scaleToBpe: accumulate d0 lower and *= bpe into Cin addr
v_cndmask_b32 v14, -1, v14, s[58:59]               // LDC clip if OOB. offset
_buffer_load_b32 v15, v14, s[sgprSrdC:sgprSrdC+3], 0, offen offset:0 // load C for beta calc
_v_add_lshl_u32 v14, v3, v10, 0x2                  // scaleToBpe: accumulate d0 lower and *= bpe into Cin addr
v_cndmask_b32 v14, -1, v14, s[58:59]               // LDD clip if OOB. offset
/* (d1,vc1,d0,vc0)=(7,0,1,2) */
_v_add_co_u32 v10, vcc, v0, 10                     // coord0.1: coord0 += d0*sg0*VW + vc0
v_cmp_lt_u32 s[54:55], v10, s[sgprSizeI]           // coord0 < size0
v_cmp_lt_u32 s[58:59], v1, s[sgprSizeJ]            // coord1 < size1
s_and_b64 s[58:59], s[54:55], s[58:59]             // in0 && in1
_v_add_lshl_u32 v17, v2, v10, 0x2                  // scaleToBpe: accumulate d0 lower and *= bpe into Cin addr
v_cndmask_b32 v17, -1, v17, s[58:59]               // LDC clip if OOB. offset
_buffer_load_b32 v18, v17, s[sgprSrdC:sgprSrdC+3], 0, offen offset:0 // load C for beta calc
_v_add_lshl_u32 v17, v3, v10, 0x2                  // scaleToBpe: accumulate d0 lower and *= bpe into Cin addr
v_cndmask_b32 v17, -1, v17, s[58:59]               // LDD clip if OOB. offset
/* (d1,vc1,d0,vc0)=(7,0,1,3) */
_v_add_co_u32 v10, vcc, v0, 11                     // coord0.1: coord0 += d0*sg0*VW + vc0
v_cmp_lt_u32 s[54:55], v10, s[sgprSizeI]           // coord0 < size0
v_cmp_lt_u32 s[58:59], v1, s[sgprSizeJ]            // coord1 < size1
s_and_b64 s[58:59], s[54:55], s[58:59]             // in0 && in1
_v_add_lshl_u32 v20, v2, v10, 0x2                  // scaleToBpe: accumulate d0 lower and *= bpe into Cin addr
v_cndmask_b32 v20, -1, v20, s[58:59]               // LDC clip if OOB. offset
_buffer_load_b32 v21, v20, s[sgprSrdC:sgprSrdC+3], 0, offen offset:0 // load C for beta calc
_v_add_lshl_u32 v20, v3, v10, 0x2                  // scaleToBpe: accumulate d0 lower and *= bpe into Cin addr
v_cndmask_b32 v20, -1, v20, s[58:59]               // LDD clip if OOB. offset
v_accvgpr_read_b32 v[vgprValuC+13], acc116 // copy acc to vreg[116]
v_accvgpr_read_b32 v[vgprValuC+16], acc117 // copy acc to vreg[117]
v_accvgpr_read_b32 v[vgprValuC+19], acc118 // copy acc to vreg[118]
v_accvgpr_read_b32 v[vgprValuC+22], acc119 // copy acc to vreg[119]
s_nop 1                                            // 2 wait states required before reading vgpr

/* rC *= alpha batchElements=[(7, 1, 0, 0), (7, 1, 0, 1), (7, 1, 0, 2), (7, 1, 0, 3)] */
v_mul_lo_u32 v[vgprValuC+13], s[sgprAlpha], v[vgprValuC+13] // *= alpha
v_mul_lo_u32 v[vgprValuC+16], s[sgprAlpha], v[vgprValuC+16] // *= alpha
	;; [unrolled: 1-line block ×4, first 2 shown]
s_waitcnt vmcnt(0)                                 // wait C

/* apply mask, calc new C and issue writes */
v_mul_lo_u32 v12, s[sgprBeta], v12                 // C = C*beta
_v_add_u32 v[vgprValuC+13], v12, v[vgprValuC+13]   // finalSum = sum*alpha + C*beta
_ds_store_b32 v7, v13, offset:32                   // storeRemap lw
v_mul_lo_u32 v15, s[sgprBeta], v15                 // C = C*beta
_v_add_u32 v[vgprValuC+16], v15, v[vgprValuC+16]   // finalSum = sum*alpha + C*beta
_ds_store_b32 v7, v16, offset:36                   // storeRemap lw
	;; [unrolled: 3-line block ×4, first 2 shown]
s_nop 0                                            // 1 wait state required when next inst writes vgprs held by previous dwordx4 store inst
/* optSingleColVgpr=0 optSharedColVgpr=0 optSGPRUsage=BufferLoad_Edge_Mask optSrdIncForRow=1 */

/******************************************/
/* Global Write Alpha Beta Edge Batch #30 (d1,d0,vc1,vc0) = */
/*    (7,2,0,0:vw1); (7,2,0,1:vw1); (7,2,0,2:vw1); (7,2,0,3:vw1) */
/******************************************/

/* calc coords, apply mask, and issue loads (if necessary) */
/* (d1,vc1,d0,vc0)=(7,0,2,0) */
_v_add_co_u32 v10, vcc, v0, 16                     // coord0.1: coord0 += d0*sg0*VW + vc0
v_cmp_lt_u32 s[54:55], v10, s[sgprSizeI]           // coord0 < size0
v_cmp_lt_u32 s[58:59], v1, s[sgprSizeJ]            // coord1 < size1
s_and_b64 s[58:59], s[54:55], s[58:59]             // in0 && in1
_v_add_lshl_u32 v9, v2, v10, 0x2                   // scaleToBpe: accumulate d0 lower and *= bpe into Cin addr
v_cndmask_b32 v9, -1, v9, s[58:59]                 // LDC clip if OOB. offset
_buffer_load_b32 v12, v9, s[sgprSrdC:sgprSrdC+3], 0, offen offset:0 // load C for beta calc
_v_add_lshl_u32 v9, v3, v10, 0x2                   // scaleToBpe: accumulate d0 lower and *= bpe into Cin addr
v_cndmask_b32 v9, -1, v9, s[58:59]                 // LDD clip if OOB. offset
/* (d1,vc1,d0,vc0)=(7,0,2,1) */
_v_add_co_u32 v10, vcc, v0, 17                     // coord0.1: coord0 += d0*sg0*VW + vc0
v_cmp_lt_u32 s[54:55], v10, s[sgprSizeI]           // coord0 < size0
v_cmp_lt_u32 s[58:59], v1, s[sgprSizeJ]            // coord1 < size1
s_and_b64 s[58:59], s[54:55], s[58:59]             // in0 && in1
_v_add_lshl_u32 v14, v2, v10, 0x2                  // scaleToBpe: accumulate d0 lower and *= bpe into Cin addr
v_cndmask_b32 v14, -1, v14, s[58:59]               // LDC clip if OOB. offset
_buffer_load_b32 v15, v14, s[sgprSrdC:sgprSrdC+3], 0, offen offset:0 // load C for beta calc
_v_add_lshl_u32 v14, v3, v10, 0x2                  // scaleToBpe: accumulate d0 lower and *= bpe into Cin addr
v_cndmask_b32 v14, -1, v14, s[58:59]               // LDD clip if OOB. offset
/* (d1,vc1,d0,vc0)=(7,0,2,2) */
_v_add_co_u32 v10, vcc, v0, 18                     // coord0.1: coord0 += d0*sg0*VW + vc0
v_cmp_lt_u32 s[54:55], v10, s[sgprSizeI]           // coord0 < size0
v_cmp_lt_u32 s[58:59], v1, s[sgprSizeJ]            // coord1 < size1
s_and_b64 s[58:59], s[54:55], s[58:59]             // in0 && in1
_v_add_lshl_u32 v17, v2, v10, 0x2                  // scaleToBpe: accumulate d0 lower and *= bpe into Cin addr
v_cndmask_b32 v17, -1, v17, s[58:59]               // LDC clip if OOB. offset
_buffer_load_b32 v18, v17, s[sgprSrdC:sgprSrdC+3], 0, offen offset:0 // load C for beta calc
_v_add_lshl_u32 v17, v3, v10, 0x2                  // scaleToBpe: accumulate d0 lower and *= bpe into Cin addr
v_cndmask_b32 v17, -1, v17, s[58:59]               // LDD clip if OOB. offset
	;; [unrolled: 10-line block ×3, first 2 shown]
v_accvgpr_read_b32 v[vgprValuC+13], acc120 // copy acc to vreg[120]
v_accvgpr_read_b32 v[vgprValuC+16], acc121 // copy acc to vreg[121]
v_accvgpr_read_b32 v[vgprValuC+19], acc122 // copy acc to vreg[122]
v_accvgpr_read_b32 v[vgprValuC+22], acc123 // copy acc to vreg[123]
s_nop 1                                            // 2 wait states required before reading vgpr

/* rC *= alpha batchElements=[(7, 2, 0, 0), (7, 2, 0, 1), (7, 2, 0, 2), (7, 2, 0, 3)] */
v_mul_lo_u32 v[vgprValuC+13], s[sgprAlpha], v[vgprValuC+13] // *= alpha
v_mul_lo_u32 v[vgprValuC+16], s[sgprAlpha], v[vgprValuC+16] // *= alpha
	;; [unrolled: 1-line block ×4, first 2 shown]
s_waitcnt vmcnt(0)                                 // wait C

/* apply mask, calc new C and issue writes */
v_mul_lo_u32 v12, s[sgprBeta], v12                 // C = C*beta
_v_add_u32 v[vgprValuC+13], v12, v[vgprValuC+13]   // finalSum = sum*alpha + C*beta
_ds_store_b32 v7, v13, offset:64                   // storeRemap lw
v_mul_lo_u32 v15, s[sgprBeta], v15                 // C = C*beta
_v_add_u32 v[vgprValuC+16], v15, v[vgprValuC+16]   // finalSum = sum*alpha + C*beta
_ds_store_b32 v7, v16, offset:68                   // storeRemap lw
	;; [unrolled: 3-line block ×4, first 2 shown]
s_nop 0                                            // 1 wait state required when next inst writes vgprs held by previous dwordx4 store inst
/* optSingleColVgpr=0 optSharedColVgpr=0 optSGPRUsage=BufferLoad_Edge_Mask optSrdIncForRow=1 */

/******************************************/
/* Global Write Alpha Beta Edge Batch #31 (d1,d0,vc1,vc0) = */
/*    (7,3,0,0:vw1); (7,3,0,1:vw1); (7,3,0,2:vw1); (7,3,0,3:vw1) */
/******************************************/

/* calc coords, apply mask, and issue loads (if necessary) */
/* (d1,vc1,d0,vc0)=(7,0,3,0) */
_v_add_co_u32 v10, vcc, v0, 24                     // coord0.1: coord0 += d0*sg0*VW + vc0
v_cmp_lt_u32 s[54:55], v10, s[sgprSizeI]           // coord0 < size0
v_cmp_lt_u32 s[58:59], v1, s[sgprSizeJ]            // coord1 < size1
s_and_b64 s[58:59], s[54:55], s[58:59]             // in0 && in1
_v_add_lshl_u32 v9, v2, v10, 0x2                   // scaleToBpe: accumulate d0 lower and *= bpe into Cin addr
v_cndmask_b32 v9, -1, v9, s[58:59]                 // LDC clip if OOB. offset
_buffer_load_b32 v12, v9, s[sgprSrdC:sgprSrdC+3], 0, offen offset:0 // load C for beta calc
_v_add_lshl_u32 v9, v3, v10, 0x2                   // scaleToBpe: accumulate d0 lower and *= bpe into Cin addr
v_cndmask_b32 v9, -1, v9, s[58:59]                 // LDD clip if OOB. offset
/* (d1,vc1,d0,vc0)=(7,0,3,1) */
_v_add_co_u32 v10, vcc, v0, 25                     // coord0.1: coord0 += d0*sg0*VW + vc0
v_cmp_lt_u32 s[54:55], v10, s[sgprSizeI]           // coord0 < size0
v_cmp_lt_u32 s[58:59], v1, s[sgprSizeJ]            // coord1 < size1
s_and_b64 s[58:59], s[54:55], s[58:59]             // in0 && in1
_v_add_lshl_u32 v14, v2, v10, 0x2                  // scaleToBpe: accumulate d0 lower and *= bpe into Cin addr
v_cndmask_b32 v14, -1, v14, s[58:59]               // LDC clip if OOB. offset
_buffer_load_b32 v15, v14, s[sgprSrdC:sgprSrdC+3], 0, offen offset:0 // load C for beta calc
_v_add_lshl_u32 v14, v3, v10, 0x2                  // scaleToBpe: accumulate d0 lower and *= bpe into Cin addr
v_cndmask_b32 v14, -1, v14, s[58:59]               // LDD clip if OOB. offset
/* (d1,vc1,d0,vc0)=(7,0,3,2) */
_v_add_co_u32 v10, vcc, v0, 26                     // coord0.1: coord0 += d0*sg0*VW + vc0
v_cmp_lt_u32 s[54:55], v10, s[sgprSizeI]           // coord0 < size0
v_cmp_lt_u32 s[58:59], v1, s[sgprSizeJ]            // coord1 < size1
s_and_b64 s[58:59], s[54:55], s[58:59]             // in0 && in1
_v_add_lshl_u32 v17, v2, v10, 0x2                  // scaleToBpe: accumulate d0 lower and *= bpe into Cin addr
v_cndmask_b32 v17, -1, v17, s[58:59]               // LDC clip if OOB. offset
_buffer_load_b32 v18, v17, s[sgprSrdC:sgprSrdC+3], 0, offen offset:0 // load C for beta calc
_v_add_lshl_u32 v17, v3, v10, 0x2                  // scaleToBpe: accumulate d0 lower and *= bpe into Cin addr
v_cndmask_b32 v17, -1, v17, s[58:59]               // LDD clip if OOB. offset
	;; [unrolled: 10-line block ×3, first 2 shown]
v_accvgpr_read_b32 v[vgprValuC+13], acc124 // copy acc to vreg[124]
v_accvgpr_read_b32 v[vgprValuC+16], acc125 // copy acc to vreg[125]
v_accvgpr_read_b32 v[vgprValuC+19], acc126 // copy acc to vreg[126]
v_accvgpr_read_b32 v[vgprValuC+22], acc127 // copy acc to vreg[127]
s_nop 1                                            // 2 wait states required before reading vgpr

/* rC *= alpha batchElements=[(7, 3, 0, 0), (7, 3, 0, 1), (7, 3, 0, 2), (7, 3, 0, 3)] */
v_mul_lo_u32 v[vgprValuC+13], s[sgprAlpha], v[vgprValuC+13] // *= alpha
v_mul_lo_u32 v[vgprValuC+16], s[sgprAlpha], v[vgprValuC+16] // *= alpha
	;; [unrolled: 1-line block ×4, first 2 shown]
s_waitcnt vmcnt(0)                                 // wait C

/* apply mask, calc new C and issue writes */
v_mul_lo_u32 v12, s[sgprBeta], v12                 // C = C*beta
_v_add_u32 v[vgprValuC+13], v12, v[vgprValuC+13]   // finalSum = sum*alpha + C*beta
_ds_store_b32 v7, v13, offset:96                   // storeRemap lw
v_mul_lo_u32 v15, s[sgprBeta], v15                 // C = C*beta
_v_add_u32 v[vgprValuC+16], v15, v[vgprValuC+16]   // finalSum = sum*alpha + C*beta
_ds_store_b32 v7, v16, offset:100                  // storeRemap lw
v_mul_lo_u32 v18, s[sgprBeta], v18                 // C = C*beta
_v_add_u32 v[vgprValuC+19], v18, v[vgprValuC+19]   // finalSum = sum*alpha + C*beta
_ds_store_b32 v7, v19, offset:104                  // storeRemap lw
	;; [unrolled: 3-line block ×3, first 2 shown]

/* Handle local read and global write */
s_waitcnt lgkmcnt(0)                               // wait for LDS write
s_barrier //wait all lds write finished

_ds_load_b128 v[12:15], v8, offset:0               // storeRemap lr
_ds_load_b128 v[16:19], v8, offset:1056            // storeRemap lr
_ds_load_b128 v[20:23], v8, offset:2112            // storeRemap lr
	;; [unrolled: 1-line block ×3, first 2 shown]

s_waitcnt lgkmcnt(3)                               // wait for LDS read
_v_add_u32 v11, v5, 0                              // coord1 += nColPerLoad
_v_add_u32 v10, v4, 0                              // coord0 += element index of load vector
_v_add_u32 v9, v6, 0                               // offset coord1 += nColPerLoad
v_cmp_lt_u32 s[54:55], v10, s[sgprSizeI]           // coord0 < size0
v_cmp_lt_u32 s[56:57], v11, s[sgprSizeJ]           // coord1 < size1
s_and_b64 s[56:57], s[54:55], s[56:57]             // in0 && in1
v_mul_lo_u32 v9, v9, s[sgprStrideD1J]              // coord1 element offset =  coord1 * StrideD
_v_add_lshl_u32 v9, v9, v10, 0x2                   // scale to BPE
v_cndmask_b32 v9, -1, v9, s[56:57]                 // clip if OOB. offset
_buffer_store_b32 v12, v9, s[sgprSrdD:sgprSrdD+3], 0, offen, offset:0 // store D
_v_add_u32 v11, v5, 0                              // coord1 += nColPerLoad
_v_add_u32 v10, v4, 1                              // coord0 += element index of load vector
_v_add_u32 v9, v6, 0                               // offset coord1 += nColPerLoad
v_cmp_lt_u32 s[54:55], v10, s[sgprSizeI]           // coord0 < size0
v_cmp_lt_u32 s[56:57], v11, s[sgprSizeJ]           // coord1 < size1
s_and_b64 s[56:57], s[54:55], s[56:57]             // in0 && in1
v_mul_lo_u32 v9, v9, s[sgprStrideD1J]              // coord1 element offset =  coord1 * StrideD
_v_add_lshl_u32 v9, v9, v10, 0x2                   // scale to BPE
v_cndmask_b32 v9, -1, v9, s[56:57]                 // clip if OOB. offset
_buffer_store_b32 v13, v9, s[sgprSrdD:sgprSrdD+3], 0, offen, offset:0 // store D
_v_add_u32 v11, v5, 0                              // coord1 += nColPerLoad
_v_add_u32 v10, v4, 2                              // coord0 += element index of load vector
_v_add_u32 v9, v6, 0                               // offset coord1 += nColPerLoad
v_cmp_lt_u32 s[54:55], v10, s[sgprSizeI]           // coord0 < size0
v_cmp_lt_u32 s[56:57], v11, s[sgprSizeJ]           // coord1 < size1
s_and_b64 s[56:57], s[54:55], s[56:57]             // in0 && in1
v_mul_lo_u32 v9, v9, s[sgprStrideD1J]              // coord1 element offset =  coord1 * StrideD
_v_add_lshl_u32 v9, v9, v10, 0x2                   // scale to BPE
v_cndmask_b32 v9, -1, v9, s[56:57]                 // clip if OOB. offset
_buffer_store_b32 v14, v9, s[sgprSrdD:sgprSrdD+3], 0, offen, offset:0 // store D
_v_add_u32 v11, v5, 0                              // coord1 += nColPerLoad
_v_add_u32 v10, v4, 3                              // coord0 += element index of load vector
_v_add_u32 v9, v6, 0                               // offset coord1 += nColPerLoad
v_cmp_lt_u32 s[54:55], v10, s[sgprSizeI]           // coord0 < size0
v_cmp_lt_u32 s[56:57], v11, s[sgprSizeJ]           // coord1 < size1
s_and_b64 s[56:57], s[54:55], s[56:57]             // in0 && in1
v_mul_lo_u32 v9, v9, s[sgprStrideD1J]              // coord1 element offset =  coord1 * StrideD
_v_add_lshl_u32 v9, v9, v10, 0x2                   // scale to BPE
v_cndmask_b32 v9, -1, v9, s[56:57]                 // clip if OOB. offset
_buffer_store_b32 v15, v9, s[sgprSrdD:sgprSrdD+3], 0, offen, offset:0 // store D
s_waitcnt lgkmcnt(2)                               // wait for LDS read
_v_add_u32 v11, v5, 2                              // coord1 += nColPerLoad
_v_add_u32 v10, v4, 0                              // coord0 += element index of load vector
_v_add_u32 v9, v6, 2                               // offset coord1 += nColPerLoad
v_cmp_lt_u32 s[54:55], v10, s[sgprSizeI]           // coord0 < size0
v_cmp_lt_u32 s[56:57], v11, s[sgprSizeJ]           // coord1 < size1
s_and_b64 s[56:57], s[54:55], s[56:57]             // in0 && in1
v_mul_lo_u32 v9, v9, s[sgprStrideD1J]              // coord1 element offset =  coord1 * StrideD
_v_add_lshl_u32 v9, v9, v10, 0x2                   // scale to BPE
v_cndmask_b32 v9, -1, v9, s[56:57]                 // clip if OOB. offset
_buffer_store_b32 v16, v9, s[sgprSrdD:sgprSrdD+3], 0, offen, offset:0 // store D
_v_add_u32 v11, v5, 2                              // coord1 += nColPerLoad
_v_add_u32 v10, v4, 1                              // coord0 += element index of load vector
_v_add_u32 v9, v6, 2                               // offset coord1 += nColPerLoad
v_cmp_lt_u32 s[54:55], v10, s[sgprSizeI]           // coord0 < size0
v_cmp_lt_u32 s[56:57], v11, s[sgprSizeJ]           // coord1 < size1
s_and_b64 s[56:57], s[54:55], s[56:57]             // in0 && in1
v_mul_lo_u32 v9, v9, s[sgprStrideD1J]              // coord1 element offset =  coord1 * StrideD
_v_add_lshl_u32 v9, v9, v10, 0x2                   // scale to BPE
v_cndmask_b32 v9, -1, v9, s[56:57]                 // clip if OOB. offset
_buffer_store_b32 v17, v9, s[sgprSrdD:sgprSrdD+3], 0, offen, offset:0 // store D
_v_add_u32 v11, v5, 2                              // coord1 += nColPerLoad
_v_add_u32 v10, v4, 2                              // coord0 += element index of load vector
_v_add_u32 v9, v6, 2                               // offset coord1 += nColPerLoad
v_cmp_lt_u32 s[54:55], v10, s[sgprSizeI]           // coord0 < size0
v_cmp_lt_u32 s[56:57], v11, s[sgprSizeJ]           // coord1 < size1
s_and_b64 s[56:57], s[54:55], s[56:57]             // in0 && in1
v_mul_lo_u32 v9, v9, s[sgprStrideD1J]              // coord1 element offset =  coord1 * StrideD
_v_add_lshl_u32 v9, v9, v10, 0x2                   // scale to BPE
v_cndmask_b32 v9, -1, v9, s[56:57]                 // clip if OOB. offset
_buffer_store_b32 v18, v9, s[sgprSrdD:sgprSrdD+3], 0, offen, offset:0 // store D
_v_add_u32 v11, v5, 2                              // coord1 += nColPerLoad
_v_add_u32 v10, v4, 3                              // coord0 += element index of load vector
_v_add_u32 v9, v6, 2                               // offset coord1 += nColPerLoad
v_cmp_lt_u32 s[54:55], v10, s[sgprSizeI]           // coord0 < size0
v_cmp_lt_u32 s[56:57], v11, s[sgprSizeJ]           // coord1 < size1
s_and_b64 s[56:57], s[54:55], s[56:57]             // in0 && in1
v_mul_lo_u32 v9, v9, s[sgprStrideD1J]              // coord1 element offset =  coord1 * StrideD
_v_add_lshl_u32 v9, v9, v10, 0x2                   // scale to BPE
v_cndmask_b32 v9, -1, v9, s[56:57]                 // clip if OOB. offset
_buffer_store_b32 v19, v9, s[sgprSrdD:sgprSrdD+3], 0, offen, offset:0 // store D
	;; [unrolled: 41-line block ×4, first 2 shown]

s_barrier //wait all lds read finished
s_nop 0                                            // 1 wait state required when next inst writes vgprs held by previous dwordx4 store inst
s_branch label_GW_End_90                           // jump to end
label_GW_End_90:

label_0095:  /// KernelEnd
s_endpgm                                           // Kernel End

